;; amdgpu-corpus repo=ROCm/rocFFT kind=compiled arch=gfx906 opt=O3
	.text
	.amdgcn_target "amdgcn-amd-amdhsa--gfx906"
	.amdhsa_code_object_version 6
	.protected	fft_rtc_back_len1521_factors_13_3_3_13_wgs_117_tpt_117_halfLds_dp_ip_CI_unitstride_sbrr_dirReg ; -- Begin function fft_rtc_back_len1521_factors_13_3_3_13_wgs_117_tpt_117_halfLds_dp_ip_CI_unitstride_sbrr_dirReg
	.globl	fft_rtc_back_len1521_factors_13_3_3_13_wgs_117_tpt_117_halfLds_dp_ip_CI_unitstride_sbrr_dirReg
	.p2align	8
	.type	fft_rtc_back_len1521_factors_13_3_3_13_wgs_117_tpt_117_halfLds_dp_ip_CI_unitstride_sbrr_dirReg,@function
fft_rtc_back_len1521_factors_13_3_3_13_wgs_117_tpt_117_halfLds_dp_ip_CI_unitstride_sbrr_dirReg: ; @fft_rtc_back_len1521_factors_13_3_3_13_wgs_117_tpt_117_halfLds_dp_ip_CI_unitstride_sbrr_dirReg
; %bb.0:
	s_load_dwordx2 s[2:3], s[4:5], 0x50
	s_load_dwordx4 s[8:11], s[4:5], 0x0
	s_load_dwordx2 s[12:13], s[4:5], 0x18
	v_mul_u32_u24_e32 v1, 0x231, v0
	v_add_u32_sdwa v5, s6, v1 dst_sel:DWORD dst_unused:UNUSED_PAD src0_sel:DWORD src1_sel:WORD_1
	v_mov_b32_e32 v3, 0
	s_waitcnt lgkmcnt(0)
	v_cmp_lt_u64_e64 s[0:1], s[10:11], 2
	v_mov_b32_e32 v1, 0
	v_mov_b32_e32 v6, v3
	s_and_b64 vcc, exec, s[0:1]
	v_mov_b32_e32 v2, 0
	s_cbranch_vccnz .LBB0_8
; %bb.1:
	s_load_dwordx2 s[0:1], s[4:5], 0x10
	s_add_u32 s6, s12, 8
	s_addc_u32 s7, s13, 0
	v_mov_b32_e32 v1, 0
	v_mov_b32_e32 v2, 0
	s_waitcnt lgkmcnt(0)
	s_add_u32 s14, s0, 8
	s_addc_u32 s15, s1, 0
	s_mov_b64 s[16:17], 1
.LBB0_2:                                ; =>This Inner Loop Header: Depth=1
	s_load_dwordx2 s[18:19], s[14:15], 0x0
                                        ; implicit-def: $vgpr7_vgpr8
	s_waitcnt lgkmcnt(0)
	v_or_b32_e32 v4, s19, v6
	v_cmp_ne_u64_e32 vcc, 0, v[3:4]
	s_and_saveexec_b64 s[0:1], vcc
	s_xor_b64 s[20:21], exec, s[0:1]
	s_cbranch_execz .LBB0_4
; %bb.3:                                ;   in Loop: Header=BB0_2 Depth=1
	v_cvt_f32_u32_e32 v4, s18
	v_cvt_f32_u32_e32 v7, s19
	s_sub_u32 s0, 0, s18
	s_subb_u32 s1, 0, s19
	v_mac_f32_e32 v4, 0x4f800000, v7
	v_rcp_f32_e32 v4, v4
	v_mul_f32_e32 v4, 0x5f7ffffc, v4
	v_mul_f32_e32 v7, 0x2f800000, v4
	v_trunc_f32_e32 v7, v7
	v_mac_f32_e32 v4, 0xcf800000, v7
	v_cvt_u32_f32_e32 v7, v7
	v_cvt_u32_f32_e32 v4, v4
	v_mul_lo_u32 v8, s0, v7
	v_mul_hi_u32 v9, s0, v4
	v_mul_lo_u32 v11, s1, v4
	v_mul_lo_u32 v10, s0, v4
	v_add_u32_e32 v8, v9, v8
	v_add_u32_e32 v8, v8, v11
	v_mul_hi_u32 v9, v4, v10
	v_mul_lo_u32 v11, v4, v8
	v_mul_hi_u32 v13, v4, v8
	v_mul_hi_u32 v12, v7, v10
	v_mul_lo_u32 v10, v7, v10
	v_mul_hi_u32 v14, v7, v8
	v_add_co_u32_e32 v9, vcc, v9, v11
	v_addc_co_u32_e32 v11, vcc, 0, v13, vcc
	v_mul_lo_u32 v8, v7, v8
	v_add_co_u32_e32 v9, vcc, v9, v10
	v_addc_co_u32_e32 v9, vcc, v11, v12, vcc
	v_addc_co_u32_e32 v10, vcc, 0, v14, vcc
	v_add_co_u32_e32 v8, vcc, v9, v8
	v_addc_co_u32_e32 v9, vcc, 0, v10, vcc
	v_add_co_u32_e32 v4, vcc, v4, v8
	v_addc_co_u32_e32 v7, vcc, v7, v9, vcc
	v_mul_lo_u32 v8, s0, v7
	v_mul_hi_u32 v9, s0, v4
	v_mul_lo_u32 v10, s1, v4
	v_mul_lo_u32 v11, s0, v4
	v_add_u32_e32 v8, v9, v8
	v_add_u32_e32 v8, v8, v10
	v_mul_lo_u32 v12, v4, v8
	v_mul_hi_u32 v13, v4, v11
	v_mul_hi_u32 v14, v4, v8
	;; [unrolled: 1-line block ×3, first 2 shown]
	v_mul_lo_u32 v11, v7, v11
	v_mul_hi_u32 v9, v7, v8
	v_add_co_u32_e32 v12, vcc, v13, v12
	v_addc_co_u32_e32 v13, vcc, 0, v14, vcc
	v_mul_lo_u32 v8, v7, v8
	v_add_co_u32_e32 v11, vcc, v12, v11
	v_addc_co_u32_e32 v10, vcc, v13, v10, vcc
	v_addc_co_u32_e32 v9, vcc, 0, v9, vcc
	v_add_co_u32_e32 v8, vcc, v10, v8
	v_addc_co_u32_e32 v9, vcc, 0, v9, vcc
	v_add_co_u32_e32 v4, vcc, v4, v8
	v_addc_co_u32_e32 v9, vcc, v7, v9, vcc
	v_mad_u64_u32 v[7:8], s[0:1], v5, v9, 0
	v_mul_hi_u32 v10, v5, v4
	v_add_co_u32_e32 v11, vcc, v10, v7
	v_addc_co_u32_e32 v12, vcc, 0, v8, vcc
	v_mad_u64_u32 v[7:8], s[0:1], v6, v4, 0
	v_mad_u64_u32 v[9:10], s[0:1], v6, v9, 0
	v_add_co_u32_e32 v4, vcc, v11, v7
	v_addc_co_u32_e32 v4, vcc, v12, v8, vcc
	v_addc_co_u32_e32 v7, vcc, 0, v10, vcc
	v_add_co_u32_e32 v4, vcc, v4, v9
	v_addc_co_u32_e32 v9, vcc, 0, v7, vcc
	v_mul_lo_u32 v10, s19, v4
	v_mul_lo_u32 v11, s18, v9
	v_mad_u64_u32 v[7:8], s[0:1], s18, v4, 0
	v_add3_u32 v8, v8, v11, v10
	v_sub_u32_e32 v10, v6, v8
	v_mov_b32_e32 v11, s19
	v_sub_co_u32_e32 v7, vcc, v5, v7
	v_subb_co_u32_e64 v10, s[0:1], v10, v11, vcc
	v_subrev_co_u32_e64 v11, s[0:1], s18, v7
	v_subbrev_co_u32_e64 v10, s[0:1], 0, v10, s[0:1]
	v_cmp_le_u32_e64 s[0:1], s19, v10
	v_cndmask_b32_e64 v12, 0, -1, s[0:1]
	v_cmp_le_u32_e64 s[0:1], s18, v11
	v_cndmask_b32_e64 v11, 0, -1, s[0:1]
	v_cmp_eq_u32_e64 s[0:1], s19, v10
	v_cndmask_b32_e64 v10, v12, v11, s[0:1]
	v_add_co_u32_e64 v11, s[0:1], 2, v4
	v_addc_co_u32_e64 v12, s[0:1], 0, v9, s[0:1]
	v_add_co_u32_e64 v13, s[0:1], 1, v4
	v_addc_co_u32_e64 v14, s[0:1], 0, v9, s[0:1]
	v_subb_co_u32_e32 v8, vcc, v6, v8, vcc
	v_cmp_ne_u32_e64 s[0:1], 0, v10
	v_cmp_le_u32_e32 vcc, s19, v8
	v_cndmask_b32_e64 v10, v14, v12, s[0:1]
	v_cndmask_b32_e64 v12, 0, -1, vcc
	v_cmp_le_u32_e32 vcc, s18, v7
	v_cndmask_b32_e64 v7, 0, -1, vcc
	v_cmp_eq_u32_e32 vcc, s19, v8
	v_cndmask_b32_e32 v7, v12, v7, vcc
	v_cmp_ne_u32_e32 vcc, 0, v7
	v_cndmask_b32_e64 v7, v13, v11, s[0:1]
	v_cndmask_b32_e32 v8, v9, v10, vcc
	v_cndmask_b32_e32 v7, v4, v7, vcc
.LBB0_4:                                ;   in Loop: Header=BB0_2 Depth=1
	s_andn2_saveexec_b64 s[0:1], s[20:21]
	s_cbranch_execz .LBB0_6
; %bb.5:                                ;   in Loop: Header=BB0_2 Depth=1
	v_cvt_f32_u32_e32 v4, s18
	s_sub_i32 s20, 0, s18
	v_rcp_iflag_f32_e32 v4, v4
	v_mul_f32_e32 v4, 0x4f7ffffe, v4
	v_cvt_u32_f32_e32 v4, v4
	v_mul_lo_u32 v7, s20, v4
	v_mul_hi_u32 v7, v4, v7
	v_add_u32_e32 v4, v4, v7
	v_mul_hi_u32 v4, v5, v4
	v_mul_lo_u32 v7, v4, s18
	v_add_u32_e32 v8, 1, v4
	v_sub_u32_e32 v7, v5, v7
	v_subrev_u32_e32 v9, s18, v7
	v_cmp_le_u32_e32 vcc, s18, v7
	v_cndmask_b32_e32 v7, v7, v9, vcc
	v_cndmask_b32_e32 v4, v4, v8, vcc
	v_add_u32_e32 v8, 1, v4
	v_cmp_le_u32_e32 vcc, s18, v7
	v_cndmask_b32_e32 v7, v4, v8, vcc
	v_mov_b32_e32 v8, v3
.LBB0_6:                                ;   in Loop: Header=BB0_2 Depth=1
	s_or_b64 exec, exec, s[0:1]
	v_mul_lo_u32 v4, v8, s18
	v_mul_lo_u32 v11, v7, s19
	v_mad_u64_u32 v[9:10], s[0:1], v7, s18, 0
	s_load_dwordx2 s[0:1], s[6:7], 0x0
	s_add_u32 s16, s16, 1
	v_add3_u32 v4, v10, v11, v4
	v_sub_co_u32_e32 v5, vcc, v5, v9
	v_subb_co_u32_e32 v4, vcc, v6, v4, vcc
	s_waitcnt lgkmcnt(0)
	v_mul_lo_u32 v4, s0, v4
	v_mul_lo_u32 v6, s1, v5
	v_mad_u64_u32 v[1:2], s[0:1], s0, v5, v[1:2]
	s_addc_u32 s17, s17, 0
	s_add_u32 s6, s6, 8
	v_add3_u32 v2, v6, v2, v4
	v_mov_b32_e32 v4, s10
	v_mov_b32_e32 v5, s11
	s_addc_u32 s7, s7, 0
	v_cmp_ge_u64_e32 vcc, s[16:17], v[4:5]
	s_add_u32 s14, s14, 8
	s_addc_u32 s15, s15, 0
	s_cbranch_vccnz .LBB0_9
; %bb.7:                                ;   in Loop: Header=BB0_2 Depth=1
	v_mov_b32_e32 v5, v7
	v_mov_b32_e32 v6, v8
	s_branch .LBB0_2
.LBB0_8:
	v_mov_b32_e32 v8, v6
	v_mov_b32_e32 v7, v5
.LBB0_9:
	s_lshl_b64 s[0:1], s[10:11], 3
	s_add_u32 s0, s12, s0
	s_addc_u32 s1, s13, s1
	s_load_dwordx2 s[6:7], s[0:1], 0x0
	s_load_dwordx2 s[10:11], s[4:5], 0x20
	v_mov_b32_e32 v78, 0
	v_mov_b32_e32 v79, 0
                                        ; implicit-def: $vgpr50_vgpr51
                                        ; implicit-def: $vgpr42_vgpr43
                                        ; implicit-def: $vgpr30_vgpr31
                                        ; implicit-def: $vgpr18_vgpr19
                                        ; implicit-def: $vgpr10_vgpr11
                                        ; implicit-def: $vgpr14_vgpr15
                                        ; implicit-def: $vgpr22_vgpr23
                                        ; implicit-def: $vgpr38_vgpr39
                                        ; implicit-def: $vgpr46_vgpr47
                                        ; implicit-def: $vgpr34_vgpr35
                                        ; implicit-def: $vgpr26_vgpr27
	s_waitcnt lgkmcnt(0)
	v_mad_u64_u32 v[1:2], s[0:1], s6, v7, v[1:2]
	v_mul_lo_u32 v3, s6, v8
	v_mul_lo_u32 v4, s7, v7
	s_mov_b32 s0, 0x2302303
	v_mul_hi_u32 v5, v0, s0
	v_cmp_gt_u64_e32 vcc, s[10:11], v[7:8]
	v_add3_u32 v2, v4, v2, v3
	v_lshlrev_b64 v[76:77], 4, v[1:2]
	v_mul_u32_u24_e32 v3, 0x75, v5
	v_sub_u32_e32 v80, v0, v3
                                        ; implicit-def: $vgpr2_vgpr3
                                        ; implicit-def: $vgpr6_vgpr7
	s_and_saveexec_b64 s[4:5], vcc
	s_cbranch_execz .LBB0_11
; %bb.10:
	v_mov_b32_e32 v81, 0
	v_mov_b32_e32 v0, s3
	v_add_co_u32_e64 v2, s[0:1], s2, v76
	v_addc_co_u32_e64 v3, s[0:1], v0, v77, s[0:1]
	v_lshlrev_b64 v[0:1], 4, v[80:81]
	v_mov_b32_e32 v78, v80
	v_add_co_u32_e64 v52, s[0:1], v2, v0
	v_addc_co_u32_e64 v53, s[0:1], v3, v1, s[0:1]
	s_movk_i32 s0, 0x1000
	v_add_co_u32_e64 v54, s[0:1], s0, v52
	v_addc_co_u32_e64 v55, s[0:1], 0, v53, s[0:1]
	s_movk_i32 s0, 0x2000
	;; [unrolled: 3-line block ×5, first 2 shown]
	v_add_co_u32_e64 v62, s[0:1], s0, v52
	global_load_dwordx4 v[24:27], v[52:53], off
	global_load_dwordx4 v[32:35], v[52:53], off offset:1872
	v_addc_co_u32_e64 v63, s[0:1], 0, v53, s[0:1]
	global_load_dwordx4 v[44:47], v[52:53], off offset:3744
	global_load_dwordx4 v[36:39], v[54:55], off offset:1520
	;; [unrolled: 1-line block ×11, first 2 shown]
	v_mov_b32_e32 v79, v81
.LBB0_11:
	s_or_b64 exec, exec, s[4:5]
	s_waitcnt vmcnt(0)
	v_add_f64 v[56:57], v[34:35], -v[50:51]
	s_mov_b32 s38, 0x4267c47c
	s_mov_b32 s24, 0x42a4c3d2
	;; [unrolled: 1-line block ×4, first 2 shown]
	v_add_f64 v[54:55], v[48:49], v[32:33]
	v_add_f64 v[60:61], v[46:47], -v[42:43]
	s_mov_b32 s12, 0xe00740e9
	v_mul_f64 v[62:63], v[56:57], s[38:39]
	v_mul_f64 v[64:65], v[56:57], s[24:25]
	s_mov_b32 s6, 0x1ea71119
	s_mov_b32 s28, 0x66966769
	;; [unrolled: 1-line block ×11, first 2 shown]
	v_add_f64 v[58:59], v[40:41], v[44:45]
	v_mul_f64 v[66:67], v[56:57], s[28:29]
	v_mul_f64 v[68:69], v[56:57], s[14:15]
	;; [unrolled: 1-line block ×6, first 2 shown]
	v_fma_f64 v[87:88], v[54:55], s[12:13], v[62:63]
	v_fma_f64 v[62:63], v[54:55], s[12:13], -v[62:63]
	v_fma_f64 v[89:90], v[54:55], s[6:7], v[64:65]
	v_fma_f64 v[64:65], v[54:55], s[6:7], -v[64:65]
	s_mov_b32 s4, 0xebaa3ed8
	s_mov_b32 s10, 0xb2365da1
	;; [unrolled: 1-line block ×12, first 2 shown]
	v_mul_f64 v[81:82], v[60:61], s[22:23]
	v_mul_f64 v[83:84], v[60:61], s[34:35]
	;; [unrolled: 1-line block ×3, first 2 shown]
	v_fma_f64 v[91:92], v[54:55], s[4:5], v[66:67]
	v_fma_f64 v[66:67], v[54:55], s[4:5], -v[66:67]
	v_fma_f64 v[93:94], v[54:55], s[10:11], v[68:69]
	v_fma_f64 v[68:69], v[54:55], s[10:11], -v[68:69]
	;; [unrolled: 2-line block ×6, first 2 shown]
	v_add_f64 v[87:88], v[24:25], v[87:88]
	v_add_f64 v[62:63], v[24:25], v[62:63]
	;; [unrolled: 1-line block ×4, first 2 shown]
	s_mov_b32 s31, 0x3fddbe06
	s_mov_b32 s30, s38
	v_add_f64 v[52:53], v[32:33], v[24:25]
	v_fma_f64 v[101:102], v[58:59], s[20:21], v[81:82]
	v_add_f64 v[91:92], v[24:25], v[91:92]
	v_add_f64 v[66:67], v[24:25], v[66:67]
	;; [unrolled: 1-line block ×12, first 2 shown]
	v_fma_f64 v[74:75], v[58:59], s[20:21], -v[81:82]
	v_fma_f64 v[81:82], v[58:59], s[18:19], v[83:84]
	v_fma_f64 v[83:84], v[58:59], s[18:19], -v[83:84]
	v_fma_f64 v[87:88], v[58:59], s[4:5], v[85:86]
	v_fma_f64 v[85:86], v[58:59], s[4:5], -v[85:86]
	v_add_f64 v[89:90], v[38:39], -v[30:31]
	v_mul_f64 v[60:61], v[60:61], s[30:31]
	s_mov_b32 s43, 0x3fedeba7
	s_mov_b32 s42, s14
	v_add_f64 v[72:73], v[101:102], v[91:92]
	v_add_f64 v[66:67], v[74:75], v[66:67]
	;; [unrolled: 1-line block ×6, first 2 shown]
	v_mul_f64 v[87:88], v[89:90], s[28:29]
	v_add_f64 v[70:71], v[85:86], v[70:71]
	v_fma_f64 v[85:86], v[58:59], s[12:13], v[60:61]
	v_fma_f64 v[58:59], v[58:59], s[12:13], -v[60:61]
	v_mul_f64 v[60:61], v[89:90], s[22:23]
	v_mul_f64 v[91:92], v[89:90], s[42:43]
	v_add_f64 v[52:53], v[44:45], v[52:53]
	s_mov_b32 s41, 0x3fcea1e5
	v_fma_f64 v[93:94], v[83:84], s[4:5], v[87:88]
	v_fma_f64 v[87:88], v[83:84], s[4:5], -v[87:88]
	v_add_f64 v[85:86], v[85:86], v[97:98]
	v_add_f64 v[24:25], v[58:59], v[24:25]
	v_mul_f64 v[58:59], v[89:90], s[30:31]
	v_fma_f64 v[95:96], v[83:84], s[20:21], v[60:61]
	v_fma_f64 v[60:61], v[83:84], s[20:21], -v[60:61]
	v_fma_f64 v[97:98], v[83:84], s[10:11], v[91:92]
	v_add_f64 v[54:55], v[93:94], v[54:55]
	v_add_f64 v[56:57], v[87:88], v[56:57]
	v_fma_f64 v[87:88], v[83:84], s[10:11], -v[91:92]
	v_mul_f64 v[91:92], v[89:90], s[24:25]
	v_fma_f64 v[93:94], v[83:84], s[12:13], v[58:59]
	v_fma_f64 v[58:59], v[83:84], s[12:13], -v[58:59]
	v_add_f64 v[60:61], v[60:61], v[64:65]
	v_add_f64 v[64:65], v[97:98], v[72:73]
	v_add_f64 v[72:73], v[22:23], -v[18:19]
	v_mul_f64 v[89:90], v[89:90], s[16:17]
	v_add_f64 v[62:63], v[95:96], v[62:63]
	v_add_f64 v[66:67], v[87:88], v[66:67]
	v_fma_f64 v[87:88], v[83:84], s[6:7], v[91:92]
	v_add_f64 v[74:75], v[93:94], v[74:75]
	v_fma_f64 v[91:92], v[83:84], s[6:7], -v[91:92]
	v_add_f64 v[93:94], v[16:17], v[20:21]
	v_mul_f64 v[95:96], v[72:73], s[14:15]
	v_add_f64 v[58:59], v[58:59], v[68:69]
	v_mul_f64 v[68:69], v[72:73], s[34:35]
	v_fma_f64 v[97:98], v[83:84], s[18:19], v[89:90]
	v_add_f64 v[52:53], v[36:37], v[52:53]
	v_add_f64 v[81:82], v[87:88], v[81:82]
	v_mul_f64 v[87:88], v[72:73], s[30:31]
	v_add_f64 v[70:71], v[91:92], v[70:71]
	v_fma_f64 v[83:84], v[83:84], s[18:19], -v[89:90]
	v_fma_f64 v[89:90], v[93:94], s[10:11], v[95:96]
	v_fma_f64 v[91:92], v[93:94], s[10:11], -v[95:96]
	v_fma_f64 v[95:96], v[93:94], s[18:19], v[68:69]
	v_fma_f64 v[68:69], v[93:94], s[18:19], -v[68:69]
	v_add_f64 v[85:86], v[97:98], v[85:86]
	v_mul_f64 v[97:98], v[72:73], s[28:29]
	v_add_f64 v[52:53], v[20:21], v[52:53]
	s_mov_b32 s40, s22
	v_fma_f64 v[99:100], v[93:94], s[12:13], v[87:88]
	v_add_f64 v[24:25], v[83:84], v[24:25]
	v_add_f64 v[56:57], v[91:92], v[56:57]
	;; [unrolled: 1-line block ×3, first 2 shown]
	v_fma_f64 v[68:69], v[93:94], s[12:13], -v[87:88]
	v_fma_f64 v[83:84], v[93:94], s[4:5], v[97:98]
	v_mul_f64 v[87:88], v[72:73], s[40:41]
	v_add_f64 v[91:92], v[14:15], -v[10:11]
	s_mov_b32 s37, 0x3fea55e2
	s_mov_b32 s36, s24
	v_add_f64 v[54:55], v[89:90], v[54:55]
	v_fma_f64 v[89:90], v[93:94], s[4:5], -v[97:98]
	v_mul_f64 v[72:73], v[72:73], s[36:37]
	v_add_f64 v[52:53], v[12:13], v[52:53]
	v_add_f64 v[62:63], v[95:96], v[62:63]
	;; [unrolled: 1-line block ×4, first 2 shown]
	v_fma_f64 v[74:75], v[93:94], s[20:21], v[87:88]
	v_add_f64 v[83:84], v[8:9], v[12:13]
	v_mul_f64 v[95:96], v[91:92], s[16:17]
	v_add_f64 v[58:59], v[89:90], v[58:59]
	v_fma_f64 v[87:88], v[93:94], s[20:21], -v[87:88]
	v_fma_f64 v[89:90], v[93:94], s[6:7], v[72:73]
	v_mul_f64 v[97:98], v[91:92], s[26:27]
	v_fma_f64 v[72:73], v[93:94], s[6:7], -v[72:73]
	v_add_f64 v[52:53], v[4:5], v[52:53]
	v_add_f64 v[74:75], v[74:75], v[81:82]
	v_mul_f64 v[81:82], v[91:92], s[24:25]
	v_fma_f64 v[93:94], v[83:84], s[18:19], v[95:96]
	v_add_f64 v[70:71], v[87:88], v[70:71]
	v_add_f64 v[64:65], v[99:100], v[64:65]
	v_fma_f64 v[87:88], v[83:84], s[4:5], v[97:98]
	v_add_f64 v[24:25], v[72:73], v[24:25]
	v_fma_f64 v[72:73], v[83:84], s[4:5], -v[97:98]
	v_add_f64 v[52:53], v[0:1], v[52:53]
	v_add_f64 v[85:86], v[89:90], v[85:86]
	v_fma_f64 v[89:90], v[83:84], s[6:7], v[81:82]
	v_add_f64 v[54:55], v[93:94], v[54:55]
	v_fma_f64 v[81:82], v[83:84], s[6:7], -v[81:82]
	v_mul_f64 v[93:94], v[91:92], s[40:41]
	v_fma_f64 v[95:96], v[83:84], s[18:19], -v[95:96]
	v_add_f64 v[62:63], v[87:88], v[62:63]
	v_mul_f64 v[87:88], v[91:92], s[30:31]
	v_add_f64 v[60:61], v[72:73], v[60:61]
	v_add_f64 v[72:73], v[6:7], -v[2:3]
	v_add_f64 v[52:53], v[8:9], v[52:53]
	v_add_f64 v[64:65], v[89:90], v[64:65]
	v_mul_f64 v[89:90], v[91:92], s[14:15]
	v_add_f64 v[66:67], v[81:82], v[66:67]
	v_fma_f64 v[81:82], v[83:84], s[20:21], v[93:94]
	v_add_f64 v[56:57], v[95:96], v[56:57]
	v_fma_f64 v[91:92], v[83:84], s[20:21], -v[93:94]
	v_fma_f64 v[93:94], v[83:84], s[12:13], v[87:88]
	v_fma_f64 v[87:88], v[83:84], s[12:13], -v[87:88]
	v_add_f64 v[95:96], v[0:1], v[4:5]
	v_mul_f64 v[97:98], v[72:73], s[22:23]
	v_add_f64 v[52:53], v[16:17], v[52:53]
	v_fma_f64 v[99:100], v[83:84], s[10:11], v[89:90]
	v_fma_f64 v[83:84], v[83:84], s[10:11], -v[89:90]
	v_add_f64 v[68:69], v[81:82], v[68:69]
	v_mul_f64 v[81:82], v[72:73], s[30:31]
	v_add_f64 v[70:71], v[87:88], v[70:71]
	v_add_f64 v[58:59], v[91:92], v[58:59]
	v_fma_f64 v[87:88], v[95:96], s[20:21], v[97:98]
	v_add_f64 v[52:53], v[28:29], v[52:53]
	v_mul_f64 v[91:92], v[72:73], s[16:17]
	v_add_f64 v[83:84], v[83:84], v[24:25]
	v_fma_f64 v[24:25], v[95:96], s[20:21], -v[97:98]
	v_fma_f64 v[89:90], v[95:96], s[12:13], v[81:82]
	v_add_f64 v[74:75], v[93:94], v[74:75]
	v_fma_f64 v[81:82], v[95:96], s[12:13], -v[81:82]
	v_mul_f64 v[93:94], v[72:73], s[36:37]
	v_add_f64 v[54:55], v[87:88], v[54:55]
	v_mul_f64 v[87:88], v[72:73], s[14:15]
	v_mul_f64 v[72:73], v[72:73], s[26:27]
	v_add_f64 v[52:53], v[40:41], v[52:53]
	v_add_f64 v[24:25], v[24:25], v[56:57]
	v_add_f64 v[56:57], v[89:90], v[62:63]
	v_fma_f64 v[62:63], v[95:96], s[18:19], v[91:92]
	v_add_f64 v[60:61], v[81:82], v[60:61]
	v_fma_f64 v[81:82], v[95:96], s[6:7], v[93:94]
	v_fma_f64 v[89:90], v[95:96], s[6:7], -v[93:94]
	v_fma_f64 v[93:94], v[95:96], s[10:11], v[87:88]
	v_add_f64 v[85:86], v[99:100], v[85:86]
	v_fma_f64 v[97:98], v[95:96], s[4:5], v[72:73]
	v_fma_f64 v[72:73], v[95:96], s[4:5], -v[72:73]
	v_fma_f64 v[87:88], v[95:96], s[10:11], -v[87:88]
	;; [unrolled: 1-line block ×3, first 2 shown]
	v_add_f64 v[52:53], v[48:49], v[52:53]
	v_add_f64 v[62:63], v[62:63], v[64:65]
	;; [unrolled: 1-line block ×8, first 2 shown]
	s_movk_i32 s0, 0x68
	v_add_f64 v[66:67], v[91:92], v[66:67]
	v_mad_u32_u24 v87, v80, s0, 0
	s_movk_i32 s0, 0xffa0
	v_mad_i32_i24 v93, v80, s0, v87
	v_add_u32_e32 v88, 0xc00, v93
	v_add_u32_e32 v89, 0x1c00, v93
	;; [unrolled: 1-line block ×5, first 2 shown]
	ds_write2_b64 v87, v[52:53], v[54:55] offset1:1
	ds_write2_b64 v87, v[56:57], v[62:63] offset0:2 offset1:3
	ds_write2_b64 v87, v[64:65], v[68:69] offset0:4 offset1:5
	;; [unrolled: 1-line block ×5, first 2 shown]
	ds_write_b64 v87, v[24:25] offset:96
	s_waitcnt lgkmcnt(0)
	s_barrier
	ds_read2_b64 v[52:55], v93 offset1:117
	ds_read2_b64 v[68:71], v88 offset0:123 offset1:240
	ds_read2_b64 v[72:75], v89 offset0:118 offset1:235
	;; [unrolled: 1-line block ×5, first 2 shown]
	v_cmp_gt_u32_e64 s[0:1], 39, v80
                                        ; implicit-def: $vgpr81_vgpr82
                                        ; implicit-def: $vgpr83_vgpr84
	s_and_saveexec_b64 s[44:45], s[0:1]
	s_cbranch_execz .LBB0_13
; %bb.12:
	ds_read_b64 v[24:25], v93 offset:3744
	ds_read_b64 v[83:84], v93 offset:7800
	;; [unrolled: 1-line block ×3, first 2 shown]
.LBB0_13:
	s_or_b64 exec, exec, s[44:45]
	v_add_f64 v[85:86], v[34:35], v[26:27]
	v_add_f64 v[32:33], v[32:33], -v[48:49]
	v_add_f64 v[34:35], v[50:51], v[34:35]
	v_add_f64 v[28:29], v[36:37], -v[28:29]
	v_add_f64 v[16:17], v[20:21], -v[16:17]
	;; [unrolled: 1-line block ×4, first 2 shown]
	s_waitcnt lgkmcnt(0)
	v_add_f64 v[85:86], v[46:47], v[85:86]
	v_mul_f64 v[48:49], v[32:33], s[38:39]
	v_mul_f64 v[94:95], v[32:33], s[24:25]
	;; [unrolled: 1-line block ×7, first 2 shown]
	v_add_f64 v[85:86], v[38:39], v[85:86]
	v_mul_f64 v[20:21], v[16:17], s[14:15]
	v_fma_f64 v[96:97], v[34:35], s[6:7], -v[94:95]
	v_fma_f64 v[94:95], v[34:35], s[6:7], v[94:95]
	v_fma_f64 v[100:101], v[34:35], s[4:5], -v[98:99]
	v_fma_f64 v[98:99], v[34:35], s[4:5], v[98:99]
	;; [unrolled: 2-line block ×3, first 2 shown]
	v_add_f64 v[85:86], v[22:23], v[85:86]
	v_fma_f64 v[108:109], v[34:35], s[18:19], -v[106:107]
	v_fma_f64 v[106:107], v[34:35], s[18:19], v[106:107]
	v_fma_f64 v[110:111], v[34:35], s[20:21], -v[32:33]
	v_fma_f64 v[32:33], v[34:35], s[20:21], v[32:33]
	v_add_f64 v[96:97], v[26:27], v[96:97]
	v_add_f64 v[94:95], v[26:27], v[94:95]
	;; [unrolled: 1-line block ×10, first 2 shown]
	v_mul_f64 v[12:13], v[8:9], s[16:17]
	v_add_f64 v[85:86], v[6:7], v[85:86]
	v_mul_f64 v[4:5], v[0:1], s[22:23]
	s_barrier
	v_add_f64 v[85:86], v[2:3], v[85:86]
	v_add_f64 v[2:3], v[2:3], v[6:7]
	;; [unrolled: 1-line block ×4, first 2 shown]
	v_fma_f64 v[6:7], v[2:3], s[20:21], -v[4:5]
	v_fma_f64 v[4:5], v[2:3], s[20:21], v[4:5]
	v_add_f64 v[85:86], v[18:19], v[85:86]
	v_add_f64 v[18:19], v[18:19], v[22:23]
	v_fma_f64 v[14:15], v[10:11], s[18:19], -v[12:13]
	v_fma_f64 v[12:13], v[10:11], s[18:19], v[12:13]
	v_add_f64 v[85:86], v[30:31], v[85:86]
	v_add_f64 v[30:31], v[30:31], v[38:39]
	v_fma_f64 v[22:23], v[18:19], s[10:11], -v[20:21]
	v_fma_f64 v[20:21], v[18:19], s[10:11], v[20:21]
	v_add_f64 v[85:86], v[42:43], v[85:86]
	v_fma_f64 v[38:39], v[30:31], s[20:21], -v[36:37]
	v_fma_f64 v[36:37], v[30:31], s[20:21], v[36:37]
	;; [unrolled: 3-line block ×3, first 2 shown]
	v_add_f64 v[34:35], v[44:45], -v[40:41]
	v_add_f64 v[50:51], v[26:27], v[50:51]
	v_add_f64 v[48:49], v[26:27], v[48:49]
	;; [unrolled: 1-line block ×4, first 2 shown]
	v_mul_f64 v[40:41], v[34:35], s[24:25]
	v_mul_f64 v[44:45], v[34:35], s[14:15]
	v_fma_f64 v[42:43], v[32:33], s[6:7], -v[40:41]
	v_fma_f64 v[40:41], v[32:33], s[6:7], v[40:41]
	v_fma_f64 v[46:47], v[32:33], s[10:11], -v[44:45]
	v_fma_f64 v[44:45], v[32:33], s[10:11], v[44:45]
	v_add_f64 v[42:43], v[42:43], v[50:51]
	v_add_f64 v[40:41], v[40:41], v[48:49]
	v_mul_f64 v[48:49], v[34:35], s[22:23]
	v_add_f64 v[44:45], v[44:45], v[94:95]
	v_mul_f64 v[94:95], v[34:35], s[34:35]
	v_add_f64 v[46:47], v[46:47], v[96:97]
	v_fma_f64 v[50:51], v[32:33], s[20:21], -v[48:49]
	v_fma_f64 v[48:49], v[32:33], s[20:21], v[48:49]
	v_fma_f64 v[96:97], v[32:33], s[18:19], -v[94:95]
	v_fma_f64 v[94:95], v[32:33], s[18:19], v[94:95]
	v_add_f64 v[36:37], v[36:37], v[44:45]
	v_mul_f64 v[44:45], v[28:29], s[30:31]
	v_add_f64 v[38:39], v[38:39], v[46:47]
	v_add_f64 v[50:51], v[50:51], v[100:101]
	;; [unrolled: 1-line block ×3, first 2 shown]
	v_mul_f64 v[98:99], v[34:35], s[26:27]
	v_mul_f64 v[34:35], v[34:35], s[30:31]
	v_add_f64 v[94:95], v[94:95], v[102:103]
	v_fma_f64 v[46:47], v[30:31], s[12:13], -v[44:45]
	v_fma_f64 v[44:45], v[30:31], s[12:13], v[44:45]
	v_add_f64 v[96:97], v[96:97], v[104:105]
	v_fma_f64 v[100:101], v[32:33], s[4:5], -v[98:99]
	v_fma_f64 v[98:99], v[32:33], s[4:5], v[98:99]
	v_fma_f64 v[102:103], v[32:33], s[12:13], -v[34:35]
	v_fma_f64 v[32:33], v[32:33], s[12:13], v[34:35]
	v_add_f64 v[44:45], v[44:45], v[94:95]
	v_add_f64 v[46:47], v[46:47], v[96:97]
	;; [unrolled: 1-line block ×6, first 2 shown]
	v_mul_f64 v[32:33], v[28:29], s[28:29]
	v_fma_f64 v[34:35], v[30:31], s[4:5], -v[32:33]
	v_fma_f64 v[32:33], v[30:31], s[4:5], v[32:33]
	v_add_f64 v[34:35], v[34:35], v[42:43]
	v_add_f64 v[32:33], v[32:33], v[40:41]
	v_mul_f64 v[40:41], v[28:29], s[42:43]
	v_add_f64 v[22:23], v[22:23], v[34:35]
	v_add_f64 v[20:21], v[20:21], v[32:33]
	v_fma_f64 v[42:43], v[30:31], s[10:11], -v[40:41]
	v_fma_f64 v[40:41], v[30:31], s[10:11], v[40:41]
	v_mul_f64 v[32:33], v[16:17], s[30:31]
	v_add_f64 v[14:15], v[14:15], v[22:23]
	v_mul_f64 v[22:23], v[8:9], s[24:25]
	v_add_f64 v[42:43], v[42:43], v[50:51]
	v_add_f64 v[40:41], v[40:41], v[48:49]
	v_mul_f64 v[48:49], v[28:29], s[24:25]
	v_mul_f64 v[28:29], v[28:29], s[16:17]
	v_fma_f64 v[34:35], v[18:19], s[12:13], -v[32:33]
	v_fma_f64 v[32:33], v[18:19], s[12:13], v[32:33]
	v_add_f64 v[12:13], v[12:13], v[20:21]
	v_add_f64 v[6:7], v[6:7], v[14:15]
	v_fma_f64 v[50:51], v[30:31], s[6:7], -v[48:49]
	v_fma_f64 v[94:95], v[30:31], s[18:19], -v[28:29]
	v_fma_f64 v[28:29], v[30:31], s[18:19], v[28:29]
	v_fma_f64 v[48:49], v[30:31], s[6:7], v[48:49]
	v_add_f64 v[32:33], v[32:33], v[40:41]
	v_mul_f64 v[40:41], v[16:17], s[40:41]
	v_add_f64 v[34:35], v[34:35], v[42:43]
	v_add_f64 v[50:51], v[50:51], v[100:101]
	;; [unrolled: 1-line block ×4, first 2 shown]
	v_mul_f64 v[28:29], v[16:17], s[34:35]
	v_add_f64 v[48:49], v[48:49], v[98:99]
	v_fma_f64 v[42:43], v[18:19], s[20:21], -v[40:41]
	v_fma_f64 v[40:41], v[18:19], s[20:21], v[40:41]
	v_fma_f64 v[30:31], v[18:19], s[18:19], -v[28:29]
	v_fma_f64 v[28:29], v[18:19], s[18:19], v[28:29]
	v_add_f64 v[42:43], v[42:43], v[50:51]
	v_add_f64 v[40:41], v[40:41], v[48:49]
	;; [unrolled: 1-line block ×4, first 2 shown]
	v_mul_f64 v[36:37], v[16:17], s[28:29]
	v_mul_f64 v[16:17], v[16:17], s[36:37]
	v_fma_f64 v[38:39], v[18:19], s[4:5], -v[36:37]
	v_fma_f64 v[36:37], v[18:19], s[4:5], v[36:37]
	v_add_f64 v[38:39], v[38:39], v[46:47]
	v_add_f64 v[36:37], v[36:37], v[44:45]
	v_fma_f64 v[44:45], v[18:19], s[6:7], -v[16:17]
	v_fma_f64 v[16:17], v[18:19], s[6:7], v[16:17]
	v_mul_f64 v[18:19], v[8:9], s[26:27]
	v_add_f64 v[44:45], v[44:45], v[94:95]
	v_add_f64 v[16:17], v[16:17], v[26:27]
	v_fma_f64 v[20:21], v[10:11], s[4:5], -v[18:19]
	v_fma_f64 v[18:19], v[10:11], s[4:5], v[18:19]
	v_fma_f64 v[26:27], v[10:11], s[6:7], -v[22:23]
	v_fma_f64 v[22:23], v[10:11], s[6:7], v[22:23]
	v_add_f64 v[20:21], v[20:21], v[30:31]
	v_add_f64 v[18:19], v[18:19], v[28:29]
	v_mul_f64 v[28:29], v[8:9], s[40:41]
	v_add_f64 v[22:23], v[22:23], v[32:33]
	v_mul_f64 v[32:33], v[8:9], s[30:31]
	v_add_f64 v[26:27], v[26:27], v[34:35]
	v_mul_f64 v[8:9], v[8:9], s[14:15]
	v_fma_f64 v[30:31], v[10:11], s[20:21], -v[28:29]
	v_fma_f64 v[28:29], v[10:11], s[20:21], v[28:29]
	v_fma_f64 v[34:35], v[10:11], s[12:13], -v[32:33]
	v_fma_f64 v[32:33], v[10:11], s[12:13], v[32:33]
	v_add_f64 v[30:31], v[30:31], v[38:39]
	v_add_f64 v[28:29], v[28:29], v[36:37]
	;; [unrolled: 1-line block ×4, first 2 shown]
	v_fma_f64 v[32:33], v[10:11], s[10:11], -v[8:9]
	v_fma_f64 v[8:9], v[10:11], s[10:11], v[8:9]
	v_add_f64 v[38:39], v[32:33], v[44:45]
	v_add_f64 v[32:33], v[4:5], v[12:13]
	v_mul_f64 v[4:5], v[0:1], s[30:31]
	v_mul_f64 v[12:13], v[0:1], s[16:17]
	v_add_f64 v[8:9], v[8:9], v[16:17]
	v_mul_f64 v[16:17], v[0:1], s[36:37]
	v_fma_f64 v[10:11], v[2:3], s[12:13], -v[4:5]
	v_fma_f64 v[4:5], v[2:3], s[12:13], v[4:5]
	v_fma_f64 v[14:15], v[2:3], s[18:19], -v[12:13]
	v_fma_f64 v[12:13], v[2:3], s[18:19], v[12:13]
	v_add_f64 v[10:11], v[10:11], v[20:21]
	v_mul_f64 v[20:21], v[0:1], s[14:15]
	v_mul_f64 v[0:1], v[0:1], s[26:27]
	v_add_f64 v[4:5], v[4:5], v[18:19]
	v_add_f64 v[12:13], v[12:13], v[22:23]
	v_fma_f64 v[18:19], v[2:3], s[6:7], -v[16:17]
	v_add_f64 v[14:15], v[14:15], v[26:27]
	v_fma_f64 v[16:17], v[2:3], s[6:7], v[16:17]
	v_fma_f64 v[22:23], v[2:3], s[10:11], -v[20:21]
	v_fma_f64 v[26:27], v[2:3], s[4:5], -v[0:1]
	v_fma_f64 v[0:1], v[2:3], s[4:5], v[0:1]
	v_fma_f64 v[20:21], v[2:3], s[10:11], v[20:21]
	v_add_f64 v[18:19], v[18:19], v[30:31]
	v_add_f64 v[16:17], v[16:17], v[28:29]
                                        ; implicit-def: $vgpr28_vgpr29
	v_add_f64 v[22:23], v[22:23], v[34:35]
	v_add_f64 v[26:27], v[26:27], v[38:39]
	;; [unrolled: 1-line block ×4, first 2 shown]
	ds_write2_b64 v87, v[85:86], v[6:7] offset1:1
	ds_write2_b64 v87, v[10:11], v[14:15] offset0:2 offset1:3
	ds_write2_b64 v87, v[18:19], v[22:23] offset0:4 offset1:5
	;; [unrolled: 1-line block ×5, first 2 shown]
	ds_write_b64 v87, v[32:33] offset:96
	s_waitcnt lgkmcnt(0)
	s_barrier
	ds_read2_b64 v[12:15], v93 offset1:117
	ds_read2_b64 v[20:23], v88 offset0:123 offset1:240
	ds_read2_b64 v[16:19], v89 offset0:118 offset1:235
	;; [unrolled: 1-line block ×5, first 2 shown]
                                        ; implicit-def: $vgpr26_vgpr27
	s_and_saveexec_b64 s[4:5], s[0:1]
	s_cbranch_execz .LBB0_15
; %bb.14:
	ds_read_b64 v[32:33], v93 offset:3744
	ds_read_b64 v[28:29], v93 offset:7800
	;; [unrolled: 1-line block ×3, first 2 shown]
.LBB0_15:
	s_or_b64 exec, exec, s[4:5]
	s_movk_i32 s4, 0x4f
	v_mul_lo_u16_sdwa v30, v80, s4 dst_sel:DWORD dst_unused:UNUSED_PAD src0_sel:BYTE_0 src1_sel:DWORD
	v_lshrrev_b16_e32 v136, 10, v30
	v_mul_lo_u16_e32 v30, 13, v136
	v_sub_u16_e32 v137, v80, v30
	v_mov_b32_e32 v30, 5
	v_lshlrev_b32_sdwa v31, v30, v137 dst_sel:DWORD dst_unused:UNUSED_PAD src0_sel:DWORD src1_sel:BYTE_0
	v_add_u16_e32 v95, 0x75, v80
	global_load_dwordx4 v[34:37], v31, s[8:9] offset:16
	global_load_dwordx4 v[38:41], v31, s[8:9]
	v_mul_lo_u16_sdwa v31, v95, s4 dst_sel:DWORD dst_unused:UNUSED_PAD src0_sel:BYTE_0 src1_sel:DWORD
	v_lshrrev_b16_e32 v138, 10, v31
	v_mul_lo_u16_e32 v31, 13, v138
	v_sub_u16_e32 v139, v95, v31
	v_add_u32_e32 v97, 0xea, v80
	v_lshlrev_b32_sdwa v30, v30, v139 dst_sel:DWORD dst_unused:UNUSED_PAD src0_sel:DWORD src1_sel:BYTE_0
	s_movk_i32 s4, 0x4ec5
	global_load_dwordx4 v[42:45], v30, s[8:9] offset:16
	global_load_dwordx4 v[46:49], v30, s[8:9]
	v_mul_u32_u24_sdwa v30, v97, s4 dst_sel:DWORD dst_unused:UNUSED_PAD src0_sel:WORD_0 src1_sel:DWORD
	v_lshrrev_b32_e32 v140, 18, v30
	v_mul_lo_u16_e32 v30, 13, v140
	v_sub_u16_e32 v141, v97, v30
	v_add_u32_e32 v96, 0x15f, v80
	v_lshlrev_b32_e32 v30, 5, v141
	global_load_dwordx4 v[98:101], v30, s[8:9] offset:16
	global_load_dwordx4 v[102:105], v30, s[8:9]
	v_mul_u32_u24_sdwa v30, v96, s4 dst_sel:DWORD dst_unused:UNUSED_PAD src0_sel:WORD_0 src1_sel:DWORD
	v_lshrrev_b32_e32 v142, 18, v30
	v_mul_lo_u16_e32 v30, 13, v142
	v_sub_u16_e32 v143, v96, v30
	v_add_u32_e32 v94, 0x1d4, v80
	v_lshlrev_b32_e32 v30, 5, v143
	global_load_dwordx4 v[106:109], v30, s[8:9] offset:16
	global_load_dwordx4 v[110:113], v30, s[8:9]
	v_mul_u32_u24_sdwa v30, v94, s4 dst_sel:DWORD dst_unused:UNUSED_PAD src0_sel:WORD_0 src1_sel:DWORD
	v_lshrrev_b32_e32 v144, 18, v30
	v_mul_lo_u16_e32 v30, 13, v144
	v_sub_u16_e32 v145, v94, v30
	v_lshlrev_b32_e32 v30, 5, v145
	global_load_dwordx4 v[114:117], v30, s[8:9]
	global_load_dwordx4 v[118:121], v30, s[8:9] offset:16
	s_mov_b32 s4, 0xe8584caa
	s_mov_b32 s5, 0xbfebb67a
	;; [unrolled: 1-line block ×4, first 2 shown]
	s_waitcnt vmcnt(0) lgkmcnt(0)
	s_barrier
	v_mul_f64 v[50:51], v[16:17], v[36:37]
	v_mul_f64 v[30:31], v[20:21], v[40:41]
	v_mul_f64 v[40:41], v[68:69], v[40:41]
	v_mul_f64 v[36:37], v[72:73], v[36:37]
	v_mul_f64 v[122:123], v[18:19], v[44:45]
	v_mul_f64 v[89:90], v[22:23], v[48:49]
	v_mul_f64 v[48:49], v[70:71], v[48:49]
	v_mul_f64 v[44:45], v[74:75], v[44:45]
	v_fma_f64 v[85:86], v[68:69], v[38:39], v[30:31]
	v_fma_f64 v[87:88], v[72:73], v[34:35], v[50:51]
	v_fma_f64 v[91:92], v[20:21], v[38:39], -v[40:41]
	v_mul_f64 v[126:127], v[0:1], v[100:101]
	v_mul_f64 v[124:125], v[4:5], v[104:105]
	;; [unrolled: 1-line block ×4, first 2 shown]
	v_fma_f64 v[72:73], v[70:71], v[46:47], v[89:90]
	v_fma_f64 v[89:90], v[22:23], v[46:47], -v[48:49]
	v_fma_f64 v[74:75], v[74:75], v[42:43], v[122:123]
	v_mul_f64 v[130:131], v[2:3], v[108:109]
	v_mul_f64 v[128:129], v[6:7], v[112:113]
	v_mul_f64 v[108:109], v[66:67], v[108:109]
	v_mul_f64 v[112:113], v[62:63], v[112:113]
	v_fma_f64 v[70:71], v[18:19], v[42:43], -v[44:45]
	v_fma_f64 v[40:41], v[60:61], v[102:103], v[124:125]
	v_mul_f64 v[132:133], v[28:29], v[116:117]
	v_mul_f64 v[134:135], v[26:27], v[120:121]
	v_mul_f64 v[116:117], v[83:84], v[116:117]
	v_mul_f64 v[120:121], v[81:82], v[120:121]
	v_fma_f64 v[44:45], v[64:65], v[98:99], v[126:127]
	v_fma_f64 v[42:43], v[62:63], v[110:111], v[128:129]
	;; [unrolled: 1-line block ×3, first 2 shown]
	v_fma_f64 v[68:69], v[16:17], v[34:35], -v[36:37]
	v_fma_f64 v[46:47], v[83:84], v[114:115], v[132:133]
	v_fma_f64 v[64:65], v[81:82], v[118:119], v[134:135]
	v_fma_f64 v[36:37], v[2:3], v[106:107], -v[108:109]
	v_add_f64 v[2:3], v[85:86], v[87:88]
	v_fma_f64 v[50:51], v[4:5], v[102:103], -v[104:105]
	v_fma_f64 v[34:35], v[0:1], v[98:99], -v[100:101]
	;; [unrolled: 1-line block ×5, first 2 shown]
	v_add_f64 v[16:17], v[72:73], v[74:75]
	v_add_f64 v[22:23], v[40:41], v[44:45]
	;; [unrolled: 1-line block ×5, first 2 shown]
	v_add_f64 v[4:5], v[91:92], -v[68:69]
	v_fma_f64 v[2:3], v[2:3], -0.5, v[52:53]
	v_add_f64 v[6:7], v[54:55], v[72:73]
	v_add_f64 v[18:19], v[89:90], -v[70:71]
	v_add_f64 v[20:21], v[56:57], v[40:41]
	v_add_f64 v[26:27], v[50:51], -v[34:35]
	;; [unrolled: 2-line block ×4, first 2 shown]
	v_fma_f64 v[16:17], v[16:17], -0.5, v[54:55]
	v_fma_f64 v[22:23], v[22:23], -0.5, v[56:57]
	v_fma_f64 v[30:31], v[30:31], -0.5, v[58:59]
	v_fma_f64 v[24:25], v[83:84], -0.5, v[24:25]
	v_add_f64 v[0:1], v[0:1], v[87:88]
	v_fma_f64 v[56:57], v[4:5], s[4:5], v[2:3]
	v_fma_f64 v[2:3], v[4:5], s[6:7], v[2:3]
	v_add_f64 v[6:7], v[6:7], v[74:75]
	v_add_f64 v[20:21], v[20:21], v[44:45]
	;; [unrolled: 1-line block ×4, first 2 shown]
	v_fma_f64 v[4:5], v[18:19], s[4:5], v[16:17]
	v_fma_f64 v[16:17], v[18:19], s[6:7], v[16:17]
	;; [unrolled: 1-line block ×8, first 2 shown]
	v_mov_b32_e32 v25, 3
	v_mul_u32_u24_e32 v24, 0x138, v136
	v_lshlrev_b32_sdwa v58, v25, v137 dst_sel:DWORD dst_unused:UNUSED_PAD src0_sel:DWORD src1_sel:BYTE_0
	v_add3_u32 v82, 0, v24, v58
	ds_write2_b64 v82, v[0:1], v[56:57] offset1:13
	ds_write_b64 v82, v[2:3] offset:208
	v_mul_u32_u24_e32 v0, 0x138, v138
	v_lshlrev_b32_sdwa v1, v25, v139 dst_sel:DWORD dst_unused:UNUSED_PAD src0_sel:DWORD src1_sel:BYTE_0
	v_add3_u32 v83, 0, v0, v1
	v_mul_u32_u24_e32 v0, 0x138, v140
	v_lshlrev_b32_e32 v1, 3, v141
	v_add3_u32 v99, 0, v0, v1
	v_mul_u32_u24_e32 v0, 0x138, v142
	v_lshlrev_b32_e32 v1, 3, v143
	v_add3_u32 v100, 0, v0, v1
	v_mul_lo_u16_e32 v84, 39, v144
	v_lshlrev_b32_e32 v98, 3, v145
	ds_write2_b64 v83, v[6:7], v[4:5] offset1:13
	ds_write_b64 v83, v[16:17] offset:208
	ds_write2_b64 v99, v[20:21], v[18:19] offset1:13
	ds_write_b64 v99, v[22:23] offset:208
	ds_write2_b64 v100, v[28:29], v[26:27] offset1:13
	ds_write_b64 v100, v[30:31] offset:208
	s_and_saveexec_b64 s[4:5], s[0:1]
	s_cbranch_execz .LBB0_17
; %bb.16:
	v_lshlrev_b32_e32 v0, 3, v84
	v_add3_u32 v0, 0, v98, v0
	ds_write2_b64 v0, v[48:49], v[52:53] offset1:13
	ds_write_b64 v0, v[54:55] offset:208
.LBB0_17:
	s_or_b64 exec, exec, s[4:5]
	v_add_u32_e32 v4, 0xc00, v93
	s_waitcnt lgkmcnt(0)
	s_barrier
	ds_read2_b64 v[16:19], v4 offset0:123 offset1:240
	v_add_u32_e32 v4, 0x1c00, v93
	ds_read2_b64 v[20:23], v4 offset0:118 offset1:235
	v_add_u32_e32 v4, 0x400, v93
	v_add_u32_e32 v24, 0x1400, v93
	;; [unrolled: 1-line block ×3, first 2 shown]
	ds_read2_b64 v[0:3], v93 offset1:117
	ds_read2_b64 v[4:7], v4 offset0:106 offset1:223
	ds_read2_b64 v[24:27], v24 offset0:101 offset1:218
	;; [unrolled: 1-line block ×3, first 2 shown]
	v_lshl_add_u32 v81, v80, 3, 0
	s_and_saveexec_b64 s[4:5], s[0:1]
	s_cbranch_execz .LBB0_19
; %bb.18:
	ds_read_b64 v[52:53], v93 offset:7800
	ds_read_b64 v[48:49], v81 offset:3744
	ds_read_b64 v[54:55], v93 offset:11856
.LBB0_19:
	s_or_b64 exec, exec, s[4:5]
	v_add_f64 v[56:57], v[91:92], v[68:69]
	v_add_f64 v[58:59], v[12:13], v[91:92]
	v_add_f64 v[91:92], v[89:90], v[70:71]
	v_add_f64 v[85:86], v[85:86], -v[87:88]
	v_add_f64 v[87:88], v[14:15], v[89:90]
	s_mov_b32 s4, 0xe8584caa
	s_mov_b32 s5, 0x3febb67a
	s_mov_b32 s7, 0xbfebb67a
	v_fma_f64 v[12:13], v[56:57], -0.5, v[12:13]
	v_add_f64 v[56:57], v[72:73], -v[74:75]
	v_fma_f64 v[14:15], v[91:92], -0.5, v[14:15]
	s_mov_b32 s6, s4
	v_add_f64 v[68:69], v[58:59], v[68:69]
	v_add_f64 v[58:59], v[62:63], v[36:37]
	;; [unrolled: 1-line block ×4, first 2 shown]
	v_fma_f64 v[74:75], v[85:86], s[4:5], v[12:13]
	v_fma_f64 v[12:13], v[85:86], s[6:7], v[12:13]
	;; [unrolled: 1-line block ×4, first 2 shown]
	v_add_f64 v[56:57], v[66:67], v[38:39]
	v_add_f64 v[40:41], v[40:41], -v[44:45]
	v_add_f64 v[44:45], v[10:11], v[62:63]
	v_fma_f64 v[10:11], v[58:59], -0.5, v[10:11]
	v_add_f64 v[58:59], v[32:33], v[66:67]
	v_add_f64 v[46:47], v[46:47], -v[64:65]
	v_fma_f64 v[8:9], v[72:73], -0.5, v[8:9]
	v_add_f64 v[42:43], v[42:43], -v[60:61]
	v_fma_f64 v[32:33], v[56:57], -0.5, v[32:33]
	v_add_f64 v[34:35], v[50:51], v[34:35]
	v_add_f64 v[70:71], v[87:88], v[70:71]
	;; [unrolled: 1-line block ×4, first 2 shown]
	s_waitcnt lgkmcnt(0)
	v_fma_f64 v[60:61], v[40:41], s[4:5], v[8:9]
	v_fma_f64 v[8:9], v[40:41], s[6:7], v[8:9]
	;; [unrolled: 1-line block ×6, first 2 shown]
	s_barrier
	ds_write2_b64 v82, v[68:69], v[74:75] offset1:13
	ds_write_b64 v82, v[12:13] offset:208
	ds_write2_b64 v83, v[70:71], v[85:86] offset1:13
	ds_write_b64 v83, v[14:15] offset:208
	;; [unrolled: 2-line block ×4, first 2 shown]
	s_and_saveexec_b64 s[4:5], s[0:1]
	s_cbranch_execz .LBB0_21
; %bb.20:
	v_lshlrev_b32_e32 v8, 3, v84
	v_add3_u32 v8, 0, v98, v8
	ds_write2_b64 v8, v[50:51], v[56:57] offset1:13
	ds_write_b64 v8, v[58:59] offset:208
.LBB0_21:
	s_or_b64 exec, exec, s[4:5]
	v_add_u32_e32 v12, 0xc00, v93
	s_waitcnt lgkmcnt(0)
	s_barrier
	ds_read2_b64 v[32:35], v12 offset0:123 offset1:240
	v_add_u32_e32 v12, 0x1c00, v93
	ds_read2_b64 v[36:39], v12 offset0:118 offset1:235
	v_add_u32_e32 v12, 0x400, v93
	v_add_u32_e32 v40, 0x1400, v93
	;; [unrolled: 1-line block ×3, first 2 shown]
	ds_read2_b64 v[8:11], v93 offset1:117
	ds_read2_b64 v[12:15], v12 offset0:106 offset1:223
	ds_read2_b64 v[40:43], v40 offset0:101 offset1:218
	;; [unrolled: 1-line block ×3, first 2 shown]
	s_and_saveexec_b64 s[4:5], s[0:1]
	s_cbranch_execz .LBB0_23
; %bb.22:
	ds_read_b64 v[56:57], v93 offset:7800
	ds_read_b64 v[50:51], v81 offset:3744
	;; [unrolled: 1-line block ×3, first 2 shown]
.LBB0_23:
	s_or_b64 exec, exec, s[4:5]
	s_movk_i32 s4, 0xa5
	v_mul_lo_u16_sdwa v60, v80, s4 dst_sel:DWORD dst_unused:UNUSED_PAD src0_sel:BYTE_0 src1_sel:DWORD
	v_sub_u16_sdwa v61, v80, v60 dst_sel:DWORD dst_unused:UNUSED_PAD src0_sel:DWORD src1_sel:BYTE_1
	v_lshrrev_b16_e32 v61, 1, v61
	v_and_b32_e32 v61, 0x7f, v61
	v_add_u16_sdwa v60, v61, v60 dst_sel:DWORD dst_unused:UNUSED_PAD src0_sel:DWORD src1_sel:BYTE_1
	v_lshrrev_b16_e32 v60, 5, v60
	v_and_b32_e32 v92, 7, v60
	v_mul_lo_u16_e32 v60, 39, v92
	v_sub_u16_e32 v130, v80, v60
	v_mov_b32_e32 v68, 5
	v_lshlrev_b32_sdwa v60, v68, v130 dst_sel:DWORD dst_unused:UNUSED_PAD src0_sel:DWORD src1_sel:BYTE_0
	v_mul_lo_u16_sdwa v69, v95, s4 dst_sel:DWORD dst_unused:UNUSED_PAD src0_sel:BYTE_0 src1_sel:DWORD
	global_load_dwordx4 v[70:73], v60, s[8:9] offset:432
	global_load_dwordx4 v[82:85], v60, s[8:9] offset:416
	v_sub_u16_sdwa v60, v95, v69 dst_sel:DWORD dst_unused:UNUSED_PAD src0_sel:DWORD src1_sel:BYTE_1
	s_mov_b32 s4, 0xa41b
	v_lshrrev_b16_e32 v74, 1, v60
	v_mul_u32_u24_sdwa v60, v97, s4 dst_sel:DWORD dst_unused:UNUSED_PAD src0_sel:WORD_0 src1_sel:DWORD
	v_sub_u16_sdwa v61, v97, v60 dst_sel:DWORD dst_unused:UNUSED_PAD src0_sel:DWORD src1_sel:WORD_1
	v_lshrrev_b16_e32 v61, 1, v61
	v_add_u16_sdwa v60, v61, v60 dst_sel:DWORD dst_unused:UNUSED_PAD src0_sel:DWORD src1_sel:WORD_1
	v_lshrrev_b16_e32 v131, 5, v60
	v_mul_lo_u16_e32 v60, 39, v131
	v_sub_u16_e32 v132, v97, v60
	v_lshlrev_b32_e32 v75, 5, v132
	global_load_dwordx4 v[60:63], v75, s[8:9] offset:432
	global_load_dwordx4 v[64:67], v75, s[8:9] offset:416
	v_mul_u32_u24_sdwa v75, v96, s4 dst_sel:DWORD dst_unused:UNUSED_PAD src0_sel:WORD_0 src1_sel:DWORD
	v_sub_u16_sdwa v86, v96, v75 dst_sel:DWORD dst_unused:UNUSED_PAD src0_sel:DWORD src1_sel:WORD_1
	v_lshrrev_b16_e32 v86, 1, v86
	v_add_u16_sdwa v75, v86, v75 dst_sel:DWORD dst_unused:UNUSED_PAD src0_sel:DWORD src1_sel:WORD_1
	v_lshrrev_b16_e32 v133, 5, v75
	v_mul_lo_u16_e32 v75, 39, v133
	v_sub_u16_e32 v134, v96, v75
	v_lshlrev_b32_e32 v75, 5, v134
	global_load_dwordx4 v[86:89], v75, s[8:9] offset:432
	global_load_dwordx4 v[96:99], v75, s[8:9] offset:416
	v_mul_u32_u24_sdwa v75, v94, s4 dst_sel:DWORD dst_unused:UNUSED_PAD src0_sel:WORD_0 src1_sel:DWORD
	v_sub_u16_sdwa v90, v94, v75 dst_sel:DWORD dst_unused:UNUSED_PAD src0_sel:DWORD src1_sel:WORD_1
	v_lshrrev_b16_e32 v90, 1, v90
	v_add_u16_sdwa v75, v90, v75 dst_sel:DWORD dst_unused:UNUSED_PAD src0_sel:DWORD src1_sel:WORD_1
	v_lshrrev_b16_e32 v75, 5, v75
	v_and_b32_e32 v74, 0x7f, v74
	v_mul_lo_u16_e32 v75, 39, v75
	v_add_u16_sdwa v69, v74, v69 dst_sel:DWORD dst_unused:UNUSED_PAD src0_sel:DWORD src1_sel:BYTE_1
	v_sub_u16_e32 v135, v94, v75
	v_lshrrev_b16_e32 v69, 5, v69
	v_lshlrev_b32_e32 v75, 5, v135
	v_and_b32_e32 v136, 7, v69
	global_load_dwordx4 v[100:103], v75, s[8:9] offset:432
	global_load_dwordx4 v[104:107], v75, s[8:9] offset:416
	v_mul_lo_u16_e32 v69, 39, v136
	v_sub_u16_e32 v137, v95, v69
	v_lshlrev_b32_sdwa v68, v68, v137 dst_sel:DWORD dst_unused:UNUSED_PAD src0_sel:DWORD src1_sel:BYTE_0
	global_load_dwordx4 v[108:111], v68, s[8:9] offset:416
	global_load_dwordx4 v[112:115], v68, s[8:9] offset:432
	s_mov_b32 s4, 0xe8584caa
	s_mov_b32 s5, 0xbfebb67a
	;; [unrolled: 1-line block ×4, first 2 shown]
	s_movk_i32 s10, 0x3a8
	s_waitcnt vmcnt(0) lgkmcnt(0)
	s_barrier
	v_mul_f64 v[124:125], v[36:37], v[72:73]
	v_mul_f64 v[122:123], v[32:33], v[84:85]
	;; [unrolled: 1-line block ×12, first 2 shown]
	v_fma_f64 v[62:63], v[24:25], v[64:65], v[68:69]
	v_fma_f64 v[68:69], v[40:41], v[64:65], -v[66:67]
	v_fma_f64 v[64:65], v[28:29], v[60:61], v[74:75]
	v_fma_f64 v[24:25], v[44:45], v[60:61], -v[90:91]
	v_fma_f64 v[60:61], v[30:31], v[86:87], v[116:117]
	v_fma_f64 v[44:45], v[26:27], v[96:97], v[94:95]
	v_fma_f64 v[26:27], v[46:47], v[86:87], -v[88:89]
	v_fma_f64 v[46:47], v[16:17], v[82:83], v[122:123]
	v_fma_f64 v[66:67], v[42:43], v[96:97], -v[98:99]
	v_mul_f64 v[120:121], v[58:59], v[102:103]
	v_mul_f64 v[118:119], v[56:57], v[106:107]
	;; [unrolled: 1-line block ×8, first 2 shown]
	v_fma_f64 v[40:41], v[54:55], v[100:101], v[120:121]
	v_fma_f64 v[30:31], v[52:53], v[104:105], v[118:119]
	v_fma_f64 v[52:53], v[20:21], v[70:71], v[124:125]
	v_fma_f64 v[42:43], v[56:57], v[104:105], -v[106:107]
	v_fma_f64 v[18:19], v[18:19], v[108:109], v[126:127]
	v_fma_f64 v[22:23], v[22:23], v[112:113], v[128:129]
	v_fma_f64 v[54:55], v[32:33], v[82:83], -v[84:85]
	v_fma_f64 v[20:21], v[36:37], v[70:71], -v[72:73]
	;; [unrolled: 1-line block ×4, first 2 shown]
	v_add_f64 v[56:57], v[46:47], v[52:53]
	v_add_f64 v[36:37], v[62:63], v[64:65]
	;; [unrolled: 1-line block ×5, first 2 shown]
	v_add_f64 v[84:85], v[54:55], -v[20:21]
	v_add_f64 v[34:35], v[4:5], v[62:63]
	v_add_f64 v[38:39], v[68:69], -v[24:25]
	v_fma_f64 v[0:1], v[56:57], -0.5, v[0:1]
	v_add_f64 v[86:87], v[2:3], v[18:19]
	v_add_f64 v[56:57], v[32:33], -v[16:17]
	v_fma_f64 v[2:3], v[70:71], -0.5, v[2:3]
	v_fma_f64 v[4:5], v[36:37], -0.5, v[4:5]
	v_fma_f64 v[28:29], v[58:59], v[100:101], -v[102:103]
	v_add_f64 v[58:59], v[6:7], v[44:45]
	v_add_f64 v[74:75], v[66:67], -v[26:27]
	v_fma_f64 v[6:7], v[72:73], -0.5, v[6:7]
	v_add_f64 v[36:37], v[82:83], v[52:53]
	v_fma_f64 v[72:73], v[84:85], s[4:5], v[0:1]
	v_fma_f64 v[0:1], v[84:85], s[6:7], v[0:1]
	v_add_f64 v[34:35], v[34:35], v[64:65]
	v_add_f64 v[70:71], v[86:87], v[22:23]
	v_fma_f64 v[82:83], v[56:57], s[4:5], v[2:3]
	v_fma_f64 v[2:3], v[56:57], s[6:7], v[2:3]
	;; [unrolled: 1-line block ×4, first 2 shown]
	v_add_f64 v[58:59], v[58:59], v[60:61]
	v_fma_f64 v[84:85], v[74:75], s[4:5], v[6:7]
	v_fma_f64 v[74:75], v[74:75], s[6:7], v[6:7]
	v_mov_b32_e32 v6, 3
	v_mul_u32_u24_sdwa v4, v92, s10 dst_sel:DWORD dst_unused:UNUSED_PAD src0_sel:WORD_0 src1_sel:DWORD
	v_lshlrev_b32_sdwa v5, v6, v130 dst_sel:DWORD dst_unused:UNUSED_PAD src0_sel:DWORD src1_sel:BYTE_0
	v_add3_u32 v5, 0, v4, v5
	ds_write2_b64 v5, v[36:37], v[72:73] offset1:39
	ds_write_b64 v5, v[0:1] offset:624
	v_mul_u32_u24_sdwa v0, v136, s10 dst_sel:DWORD dst_unused:UNUSED_PAD src0_sel:WORD_0 src1_sel:DWORD
	v_lshlrev_b32_sdwa v1, v6, v137 dst_sel:DWORD dst_unused:UNUSED_PAD src0_sel:DWORD src1_sel:BYTE_0
	v_add3_u32 v6, 0, v0, v1
	v_mul_u32_u24_e32 v0, 0x3a8, v131
	v_lshlrev_b32_e32 v1, 3, v132
	v_add3_u32 v7, 0, v0, v1
	v_mul_u32_u24_e32 v0, 0x3a8, v133
	v_lshlrev_b32_e32 v1, 3, v134
	ds_write2_b64 v6, v[70:71], v[82:83] offset1:39
	ds_write_b64 v6, v[2:3] offset:624
	ds_write2_b64 v7, v[34:35], v[56:57] offset1:39
	ds_write_b64 v7, v[38:39] offset:624
	v_add3_u32 v34, 0, v0, v1
	v_lshl_add_u32 v4, v135, 3, 0
	ds_write2_b64 v34, v[58:59], v[84:85] offset1:39
	ds_write_b64 v34, v[74:75] offset:624
	s_and_saveexec_b64 s[10:11], s[0:1]
	s_cbranch_execz .LBB0_25
; %bb.24:
	v_add_f64 v[0:1], v[30:31], v[40:41]
	v_add_f64 v[2:3], v[42:43], -v[28:29]
	v_add_f64 v[35:36], v[48:49], v[30:31]
	v_fma_f64 v[0:1], v[0:1], -0.5, v[48:49]
	v_add_f64 v[35:36], v[35:36], v[40:41]
	v_fma_f64 v[37:38], v[2:3], s[4:5], v[0:1]
	v_fma_f64 v[0:1], v[2:3], s[6:7], v[0:1]
	v_add_u32_e32 v2, 0x2800, v4
	ds_write2_b64 v2, v[35:36], v[37:38] offset0:124 offset1:163
	ds_write_b64 v4, v[0:1] offset:11856
.LBB0_25:
	s_or_b64 exec, exec, s[10:11]
	v_add_f64 v[0:1], v[54:55], v[20:21]
	v_add_f64 v[2:3], v[8:9], v[54:55]
	v_add_f64 v[35:36], v[46:47], -v[52:53]
	v_add_f64 v[37:38], v[10:11], v[32:33]
	v_add_f64 v[32:33], v[32:33], v[16:17]
	v_add_f64 v[18:19], v[18:19], -v[22:23]
	v_add_f64 v[22:23], v[68:69], v[24:25]
	v_add_f64 v[46:47], v[66:67], v[26:27]
	v_fma_f64 v[0:1], v[0:1], -0.5, v[8:9]
	v_add_f64 v[8:9], v[12:13], v[68:69]
	v_add_f64 v[48:49], v[62:63], -v[64:65]
	v_add_f64 v[52:53], v[14:15], v[66:67]
	v_fma_f64 v[10:11], v[32:33], -0.5, v[10:11]
	v_add_f64 v[32:33], v[2:3], v[20:21]
	v_fma_f64 v[2:3], v[22:23], -0.5, v[12:13]
	v_add_f64 v[12:13], v[44:45], -v[60:61]
	v_fma_f64 v[54:55], v[35:36], s[6:7], v[0:1]
	v_fma_f64 v[35:36], v[35:36], s[4:5], v[0:1]
	v_fma_f64 v[0:1], v[46:47], -0.5, v[14:15]
	v_add_f64 v[58:59], v[8:9], v[24:25]
	v_add_u32_e32 v8, 0x400, v93
	v_fma_f64 v[46:47], v[18:19], s[6:7], v[10:11]
	v_fma_f64 v[56:57], v[18:19], s[4:5], v[10:11]
	;; [unrolled: 1-line block ×4, first 2 shown]
	s_waitcnt lgkmcnt(0)
	v_fma_f64 v[62:63], v[12:13], s[6:7], v[0:1]
	v_fma_f64 v[64:65], v[12:13], s[4:5], v[0:1]
	v_add_u32_e32 v12, 0x1000, v93
	s_barrier
	ds_read2_b64 v[0:3], v93 offset1:117
	ds_read2_b64 v[8:11], v8 offset0:106 offset1:223
	ds_read_b64 v[44:45], v81 offset:3744
	ds_read2_b64 v[20:23], v12 offset0:73 offset1:190
	v_add_u32_e32 v12, 0x1800, v93
	v_add_f64 v[52:53], v[52:53], v[26:27]
	ds_read2_b64 v[24:27], v12 offset0:51 offset1:168
	v_add_u32_e32 v12, 0x2000, v93
	v_add_f64 v[37:38], v[37:38], v[16:17]
	ds_read2_b64 v[16:19], v12 offset0:29 offset1:146
	v_add_u32_e32 v12, 0x2800, v93
	ds_read2_b64 v[12:15], v12 offset0:7 offset1:124
	s_waitcnt lgkmcnt(0)
	s_barrier
	ds_write2_b64 v5, v[32:33], v[54:55] offset1:39
	ds_write_b64 v5, v[35:36] offset:624
	ds_write2_b64 v6, v[37:38], v[46:47] offset1:39
	ds_write_b64 v6, v[56:57] offset:624
	ds_write2_b64 v7, v[58:59], v[60:61] offset1:39
	ds_write_b64 v7, v[48:49] offset:624
	ds_write2_b64 v34, v[52:53], v[62:63] offset1:39
	ds_write_b64 v34, v[64:65] offset:624
	s_and_saveexec_b64 s[4:5], s[0:1]
	s_cbranch_execz .LBB0_27
; %bb.26:
	v_add_f64 v[5:6], v[42:43], v[28:29]
	v_add_f64 v[32:33], v[50:51], v[42:43]
	v_add_f64 v[30:31], v[30:31], -v[40:41]
	s_mov_b32 s1, 0x3febb67a
	s_mov_b32 s0, 0xe8584caa
	v_add_u32_e32 v7, 0x2800, v4
	v_fma_f64 v[5:6], v[5:6], -0.5, v[50:51]
	v_add_f64 v[28:29], v[32:33], v[28:29]
	v_fma_f64 v[32:33], v[30:31], s[0:1], v[5:6]
	s_mov_b32 s1, 0xbfebb67a
	v_fma_f64 v[5:6], v[30:31], s[0:1], v[5:6]
	ds_write2_b64 v7, v[28:29], v[32:33] offset0:124 offset1:163
	ds_write_b64 v4, v[5:6] offset:11856
.LBB0_27:
	s_or_b64 exec, exec, s[4:5]
	s_waitcnt lgkmcnt(0)
	s_barrier
	s_and_saveexec_b64 s[0:1], vcc
	s_cbranch_execz .LBB0_29
; %bb.28:
	v_mul_u32_u24_e32 v4, 12, v80
	v_lshlrev_b32_e32 v4, 4, v4
	global_load_dwordx4 v[32:35], v4, s[8:9] offset:1744
	global_load_dwordx4 v[28:31], v4, s[8:9] offset:1760
	;; [unrolled: 1-line block ×12, first 2 shown]
	v_add_u32_e32 v46, 0x1000, v93
	v_add_u32_e32 v47, 0x1800, v93
	ds_read_b64 v[74:75], v81 offset:3744
	v_add_u32_e32 v48, 0x2000, v93
	v_add_u32_e32 v49, 0x400, v93
	v_add_u32_e32 v50, 0x2800, v93
	ds_read2_b64 v[4:7], v93 offset1:117
	ds_read2_b64 v[68:71], v46 offset0:73 offset1:190
	ds_read2_b64 v[86:89], v47 offset0:51 offset1:168
	;; [unrolled: 1-line block ×5, first 2 shown]
	s_mov_b32 s10, 0x4bc48dbf
	s_mov_b32 s11, 0xbfcea1e5
	;; [unrolled: 1-line block ×32, first 2 shown]
	s_waitcnt vmcnt(11)
	v_mul_f64 v[46:47], v[22:23], v[32:33]
	v_mul_f64 v[22:23], v[22:23], v[34:35]
	s_waitcnt vmcnt(9)
	v_mul_f64 v[72:73], v[20:21], v[40:41]
	s_waitcnt vmcnt(8)
	v_mul_f64 v[90:91], v[26:27], v[36:37]
	v_mul_f64 v[20:21], v[20:21], v[42:43]
	;; [unrolled: 1-line block ×3, first 2 shown]
	s_waitcnt vmcnt(6)
	v_mul_f64 v[114:115], v[16:17], v[56:57]
	v_mul_f64 v[116:117], v[44:45], v[54:55]
	;; [unrolled: 1-line block ×4, first 2 shown]
	s_waitcnt vmcnt(1)
	v_mul_f64 v[130:131], v[2:3], v[94:95]
	s_waitcnt vmcnt(0)
	v_mul_f64 v[132:133], v[14:15], v[102:103]
	v_mul_f64 v[134:135], v[2:3], v[96:97]
	;; [unrolled: 1-line block ×9, first 2 shown]
	s_waitcnt lgkmcnt(4)
	v_fma_f64 v[48:49], v[70:71], v[34:35], v[46:47]
	v_fma_f64 v[50:51], v[70:71], v[32:33], -v[22:23]
	v_fma_f64 v[70:71], v[68:69], v[42:43], v[72:73]
	v_fma_f64 v[72:73], v[68:69], v[40:41], -v[20:21]
	s_waitcnt lgkmcnt(3)
	v_fma_f64 v[38:39], v[88:89], v[38:39], v[90:91]
	v_fma_f64 v[40:41], v[88:89], v[36:37], -v[26:27]
	s_waitcnt lgkmcnt(2)
	v_fma_f64 v[32:33], v[106:107], v[58:59], v[114:115]
	v_fma_f64 v[90:91], v[74:75], v[52:53], -v[116:117]
	v_fma_f64 v[114:115], v[6:7], v[96:97], v[130:131]
	s_waitcnt lgkmcnt(0)
	v_fma_f64 v[2:3], v[120:121], v[104:105], v[132:133]
	v_fma_f64 v[116:117], v[6:7], v[94:95], -v[134:135]
	v_fma_f64 v[26:27], v[120:121], v[102:103], -v[14:15]
	v_mul_f64 v[92:93], v[44:45], v[52:53]
	v_mul_f64 v[124:125], v[18:19], v[64:65]
	;; [unrolled: 1-line block ×4, first 2 shown]
	v_fma_f64 v[44:45], v[86:87], v[30:31], v[80:81]
	v_fma_f64 v[46:47], v[86:87], v[28:29], -v[24:25]
	v_fma_f64 v[36:37], v[106:107], v[56:57], -v[16:17]
	v_fma_f64 v[96:97], v[112:113], v[62:63], v[122:123]
	v_fma_f64 v[106:107], v[110:111], v[84:85], v[126:127]
	;; [unrolled: 1-line block ×3, first 2 shown]
	v_fma_f64 v[110:111], v[110:111], v[82:83], -v[8:9]
	v_fma_f64 v[30:31], v[118:119], v[98:99], -v[12:13]
	v_add_f64 v[122:123], v[114:115], -v[2:3]
	v_add_f64 v[118:119], v[116:117], -v[26:27]
	v_fma_f64 v[34:35], v[108:109], v[66:67], v[124:125]
	v_fma_f64 v[100:101], v[112:113], v[60:61], -v[10:11]
	v_fma_f64 v[42:43], v[108:109], v[64:65], -v[18:19]
	v_add_f64 v[112:113], v[106:107], -v[28:29]
	v_add_f64 v[120:121], v[116:117], v[26:27]
	v_add_f64 v[84:85], v[110:111], -v[30:31]
	v_mul_f64 v[6:7], v[122:123], s[10:11]
	v_add_f64 v[104:105], v[114:115], v[2:3]
	v_mul_f64 v[8:9], v[118:119], s[10:11]
	v_fma_f64 v[88:89], v[74:75], v[54:55], v[92:93]
	v_add_f64 v[108:109], v[96:97], -v[34:35]
	v_add_f64 v[74:75], v[110:111], v[30:31]
	v_add_f64 v[68:69], v[100:101], -v[42:43]
	v_add_f64 v[82:83], v[106:107], v[28:29]
	v_mul_f64 v[10:11], v[112:113], s[12:13]
	v_fma_f64 v[12:13], v[120:121], s[6:7], v[6:7]
	v_mul_f64 v[14:15], v[84:85], s[12:13]
	v_fma_f64 v[18:19], v[104:105], s[6:7], -v[8:9]
	v_add_f64 v[98:99], v[88:89], -v[32:33]
	v_add_f64 v[58:59], v[100:101], v[42:43]
	v_add_f64 v[66:67], v[90:91], -v[36:37]
	v_add_f64 v[62:63], v[96:97], v[34:35]
	v_mul_f64 v[16:17], v[108:109], s[4:5]
	v_fma_f64 v[20:21], v[74:75], s[8:9], v[10:11]
	v_add_f64 v[12:13], v[4:5], v[12:13]
	v_mul_f64 v[22:23], v[68:69], s[4:5]
	v_fma_f64 v[64:65], v[82:83], s[8:9], -v[14:15]
	v_add_f64 v[18:19], v[0:1], v[18:19]
	v_add_f64 v[52:53], v[90:91], v[36:37]
	;; [unrolled: 1-line block ×3, first 2 shown]
	v_add_f64 v[102:103], v[70:71], -v[38:39]
	v_mul_f64 v[24:25], v[98:99], s[22:23]
	v_fma_f64 v[86:87], v[58:59], s[0:1], v[16:17]
	v_add_f64 v[12:13], v[20:21], v[12:13]
	v_add_f64 v[80:81], v[72:73], -v[40:41]
	v_mul_f64 v[20:21], v[66:67], s[22:23]
	v_fma_f64 v[94:95], v[62:63], s[0:1], -v[22:23]
	v_add_f64 v[18:19], v[64:65], v[18:19]
	v_add_f64 v[56:57], v[72:73], v[40:41]
	;; [unrolled: 1-line block ×3, first 2 shown]
	v_mul_f64 v[124:125], v[102:103], s[18:19]
	v_fma_f64 v[126:127], v[52:53], s[16:17], v[24:25]
	v_add_f64 v[12:13], v[86:87], v[12:13]
	v_add_f64 v[92:93], v[48:49], -v[44:45]
	v_mul_f64 v[128:129], v[80:81], s[18:19]
	v_fma_f64 v[86:87], v[54:55], s[16:17], -v[20:21]
	v_fma_f64 v[6:7], v[120:121], s[6:7], -v[6:7]
	v_add_f64 v[18:19], v[94:95], v[18:19]
	v_add_f64 v[64:65], v[50:51], v[46:47]
	v_fma_f64 v[130:131], v[56:57], s[14:15], v[124:125]
	v_add_f64 v[12:13], v[126:127], v[12:13]
	v_mul_f64 v[126:127], v[92:93], s[26:27]
	v_add_f64 v[94:95], v[50:51], -v[46:47]
	v_fma_f64 v[132:133], v[60:61], s[14:15], -v[128:129]
	v_fma_f64 v[10:11], v[74:75], s[8:9], -v[10:11]
	v_add_f64 v[6:7], v[4:5], v[6:7]
	v_fma_f64 v[8:9], v[104:105], s[6:7], v[8:9]
	v_add_f64 v[18:19], v[86:87], v[18:19]
	v_mul_f64 v[134:135], v[122:123], s[4:5]
	v_add_f64 v[12:13], v[130:131], v[12:13]
	v_fma_f64 v[130:131], v[64:65], s[20:21], v[126:127]
	v_add_f64 v[86:87], v[48:49], v[44:45]
	v_mul_f64 v[136:137], v[94:95], s[26:27]
	v_add_f64 v[6:7], v[10:11], v[6:7]
	v_fma_f64 v[10:11], v[82:83], s[8:9], v[14:15]
	v_add_f64 v[14:15], v[0:1], v[8:9]
	v_fma_f64 v[16:17], v[58:59], s[0:1], -v[16:17]
	v_add_f64 v[18:19], v[132:133], v[18:19]
	v_fma_f64 v[132:133], v[120:121], s[0:1], v[134:135]
	v_add_f64 v[8:9], v[130:131], v[12:13]
	v_mul_f64 v[12:13], v[112:113], s[26:27]
	v_fma_f64 v[130:131], v[86:87], s[20:21], -v[136:137]
	v_mul_f64 v[140:141], v[108:109], s[24:25]
	v_add_f64 v[10:11], v[10:11], v[14:15]
	v_add_f64 v[14:15], v[16:17], v[6:7]
	v_fma_f64 v[16:17], v[62:63], s[0:1], v[22:23]
	v_fma_f64 v[22:23], v[52:53], s[16:17], -v[24:25]
	v_add_f64 v[24:25], v[4:5], v[132:133]
	v_mul_f64 v[132:133], v[118:119], s[4:5]
	v_fma_f64 v[138:139], v[74:75], s[20:21], v[12:13]
	v_add_f64 v[6:7], v[130:131], v[18:19]
	v_mul_f64 v[18:19], v[84:85], s[26:27]
	v_fma_f64 v[20:21], v[54:55], s[16:17], v[20:21]
	v_add_f64 v[10:11], v[16:17], v[10:11]
	v_add_f64 v[14:15], v[22:23], v[14:15]
	v_mul_f64 v[130:131], v[98:99], s[34:35]
	v_fma_f64 v[16:17], v[104:105], s[0:1], -v[132:133]
	v_add_f64 v[22:23], v[138:139], v[24:25]
	v_fma_f64 v[24:25], v[58:59], s[16:17], v[140:141]
	v_fma_f64 v[138:139], v[82:83], s[20:21], -v[18:19]
	v_mul_f64 v[142:143], v[68:69], s[24:25]
	v_add_f64 v[10:11], v[20:21], v[10:11]
	v_fma_f64 v[20:21], v[56:57], s[14:15], -v[124:125]
	v_fma_f64 v[124:125], v[60:61], s[14:15], v[128:129]
	v_add_f64 v[16:17], v[0:1], v[16:17]
	v_mul_f64 v[128:129], v[102:103], s[12:13]
	v_add_f64 v[22:23], v[24:25], v[22:23]
	v_fma_f64 v[24:25], v[52:53], s[6:7], v[130:131]
	v_mul_f64 v[144:145], v[66:67], s[34:35]
	v_fma_f64 v[12:13], v[74:75], s[20:21], -v[12:13]
	v_add_f64 v[14:15], v[20:21], v[14:15]
	v_add_f64 v[10:11], v[124:125], v[10:11]
	;; [unrolled: 1-line block ×3, first 2 shown]
	v_fma_f64 v[138:139], v[62:63], s[16:17], -v[142:143]
	v_fma_f64 v[124:125], v[120:121], s[0:1], -v[134:135]
	v_add_f64 v[22:23], v[24:25], v[22:23]
	v_fma_f64 v[24:25], v[56:57], s[8:9], v[128:129]
	v_fma_f64 v[20:21], v[64:65], s[20:21], -v[126:127]
	v_fma_f64 v[126:127], v[54:55], s[6:7], -v[144:145]
	v_mul_f64 v[134:135], v[80:81], s[12:13]
	v_fma_f64 v[136:137], v[86:87], s[20:21], v[136:137]
	v_add_f64 v[16:17], v[138:139], v[16:17]
	v_mul_f64 v[138:139], v[92:93], s[18:19]
	v_add_f64 v[124:125], v[4:5], v[124:125]
	v_add_f64 v[22:23], v[24:25], v[22:23]
	v_fma_f64 v[24:25], v[104:105], s[0:1], v[132:133]
	v_mul_f64 v[148:149], v[94:95], s[18:19]
	v_fma_f64 v[132:133], v[60:61], s[8:9], -v[134:135]
	v_fma_f64 v[140:141], v[58:59], s[16:17], -v[140:141]
	v_add_f64 v[126:127], v[126:127], v[16:17]
	v_fma_f64 v[146:147], v[64:65], s[14:15], v[138:139]
	v_add_f64 v[124:125], v[12:13], v[124:125]
	v_fma_f64 v[18:19], v[82:83], s[20:21], v[18:19]
	v_add_f64 v[24:25], v[0:1], v[24:25]
	v_add_f64 v[16:17], v[20:21], v[14:15]
	;; [unrolled: 1-line block ×3, first 2 shown]
	v_fma_f64 v[20:21], v[86:87], s[14:15], -v[148:149]
	v_add_f64 v[10:11], v[132:133], v[126:127]
	v_add_f64 v[12:13], v[146:147], v[22:23]
	v_mul_f64 v[22:23], v[122:123], s[18:19]
	v_add_f64 v[124:125], v[140:141], v[124:125]
	v_add_f64 v[18:19], v[18:19], v[24:25]
	v_fma_f64 v[24:25], v[62:63], s[16:17], v[142:143]
	v_fma_f64 v[126:127], v[52:53], s[6:7], -v[130:131]
	v_mul_f64 v[130:131], v[118:119], s[18:19]
	v_mul_f64 v[136:137], v[112:113], s[30:31]
	v_add_f64 v[10:11], v[20:21], v[10:11]
	v_fma_f64 v[132:133], v[120:121], s[14:15], v[22:23]
	v_fma_f64 v[20:21], v[54:55], s[6:7], v[144:145]
	v_mul_f64 v[140:141], v[84:85], s[30:31]
	v_add_f64 v[18:19], v[24:25], v[18:19]
	v_add_f64 v[124:125], v[126:127], v[124:125]
	v_fma_f64 v[24:25], v[104:105], s[14:15], -v[130:131]
	v_mul_f64 v[142:143], v[108:109], s[12:13]
	v_fma_f64 v[128:129], v[56:57], s[8:9], -v[128:129]
	v_add_f64 v[126:127], v[4:5], v[132:133]
	v_fma_f64 v[132:133], v[74:75], s[0:1], v[136:137]
	v_mul_f64 v[144:145], v[68:69], s[12:13]
	v_add_f64 v[18:19], v[20:21], v[18:19]
	v_mul_f64 v[146:147], v[98:99], s[28:29]
	v_add_f64 v[20:21], v[0:1], v[24:25]
	v_fma_f64 v[24:25], v[82:83], s[0:1], -v[140:141]
	v_fma_f64 v[134:135], v[60:61], s[8:9], v[134:135]
	v_mul_f64 v[150:151], v[66:67], s[28:29]
	v_add_f64 v[126:127], v[132:133], v[126:127]
	v_fma_f64 v[132:133], v[58:59], s[8:9], v[142:143]
	v_add_f64 v[124:125], v[128:129], v[124:125]
	v_fma_f64 v[22:23], v[120:121], s[14:15], -v[22:23]
	v_fma_f64 v[128:129], v[52:53], s[20:21], v[146:147]
	v_add_f64 v[20:21], v[24:25], v[20:21]
	v_fma_f64 v[24:25], v[62:63], s[8:9], -v[144:145]
	v_add_f64 v[18:19], v[134:135], v[18:19]
	v_mul_f64 v[134:135], v[80:81], s[34:35]
	v_add_f64 v[126:127], v[132:133], v[126:127]
	v_mul_f64 v[132:133], v[102:103], s[34:35]
	v_fma_f64 v[138:139], v[64:65], s[14:15], -v[138:139]
	v_fma_f64 v[136:137], v[74:75], s[0:1], -v[136:137]
	v_add_f64 v[22:23], v[4:5], v[22:23]
	v_add_f64 v[20:21], v[24:25], v[20:21]
	v_fma_f64 v[24:25], v[54:55], s[20:21], -v[150:151]
	v_fma_f64 v[152:153], v[60:61], s[6:7], -v[134:135]
	v_add_f64 v[126:127], v[128:129], v[126:127]
	v_fma_f64 v[128:129], v[56:57], s[6:7], v[132:133]
	v_mul_f64 v[154:155], v[92:93], s[22:23]
	v_mul_f64 v[156:157], v[94:95], s[22:23]
	v_add_f64 v[22:23], v[136:137], v[22:23]
	v_fma_f64 v[136:137], v[58:59], s[8:9], -v[142:143]
	v_add_f64 v[24:25], v[24:25], v[20:21]
	v_add_f64 v[20:21], v[138:139], v[124:125]
	v_fma_f64 v[148:149], v[86:87], s[14:15], v[148:149]
	v_add_f64 v[124:125], v[128:129], v[126:127]
	v_fma_f64 v[126:127], v[104:105], s[14:15], v[130:131]
	v_fma_f64 v[130:131], v[86:87], s[16:17], -v[156:157]
	v_mul_f64 v[138:139], v[122:123], s[28:29]
	v_add_f64 v[136:137], v[136:137], v[22:23]
	v_add_f64 v[128:129], v[152:153], v[24:25]
	v_fma_f64 v[24:25], v[64:65], s[16:17], v[154:155]
	v_fma_f64 v[142:143], v[52:53], s[20:21], -v[146:147]
	v_fma_f64 v[140:141], v[82:83], s[0:1], v[140:141]
	v_add_f64 v[126:127], v[0:1], v[126:127]
	v_mul_f64 v[146:147], v[118:119], s[28:29]
	v_add_f64 v[18:19], v[148:149], v[18:19]
	v_mul_f64 v[148:149], v[112:113], s[10:11]
	v_add_f64 v[22:23], v[130:131], v[128:129]
	v_add_f64 v[24:25], v[24:25], v[124:125]
	v_fma_f64 v[124:125], v[120:121], s[20:21], v[138:139]
	v_add_f64 v[128:129], v[142:143], v[136:137]
	v_add_f64 v[126:127], v[140:141], v[126:127]
	v_fma_f64 v[130:131], v[104:105], s[20:21], -v[146:147]
	v_mul_f64 v[136:137], v[84:85], s[10:11]
	v_fma_f64 v[140:141], v[62:63], s[8:9], v[144:145]
	s_mov_b32 s23, 0x3fedeba7
	s_mov_b32 s22, s18
	v_add_f64 v[124:125], v[4:5], v[124:125]
	v_fma_f64 v[142:143], v[74:75], s[6:7], v[148:149]
	v_mul_f64 v[144:145], v[108:109], s[22:23]
	v_add_f64 v[130:131], v[0:1], v[130:131]
	v_fma_f64 v[152:153], v[82:83], s[6:7], -v[136:137]
	v_mul_f64 v[158:159], v[68:69], s[22:23]
	v_add_f64 v[126:127], v[140:141], v[126:127]
	v_fma_f64 v[140:141], v[54:55], s[20:21], v[150:151]
	v_mul_f64 v[160:161], v[66:67], s[12:13]
	v_add_f64 v[124:125], v[142:143], v[124:125]
	v_fma_f64 v[142:143], v[58:59], s[14:15], v[144:145]
	v_fma_f64 v[134:135], v[60:61], s[6:7], v[134:135]
	v_add_f64 v[130:131], v[152:153], v[130:131]
	v_fma_f64 v[152:153], v[62:63], s[14:15], -v[158:159]
	v_fma_f64 v[132:133], v[56:57], s[6:7], -v[132:133]
	v_add_f64 v[126:127], v[140:141], v[126:127]
	v_mul_f64 v[150:151], v[98:99], s[12:13]
	v_fma_f64 v[148:149], v[74:75], s[6:7], -v[148:149]
	v_add_f64 v[124:125], v[142:143], v[124:125]
	v_fma_f64 v[142:143], v[54:55], s[8:9], -v[160:161]
	v_mul_f64 v[140:141], v[102:103], s[24:25]
	v_add_f64 v[130:131], v[152:153], v[130:131]
	v_mul_f64 v[152:153], v[80:81], s[24:25]
	v_add_f64 v[134:135], v[134:135], v[126:127]
	v_fma_f64 v[126:127], v[120:121], s[20:21], -v[138:139]
	v_add_f64 v[128:129], v[132:133], v[128:129]
	v_fma_f64 v[132:133], v[52:53], s[8:9], v[150:151]
	v_fma_f64 v[138:139], v[64:65], s[16:17], -v[154:155]
	v_fma_f64 v[154:155], v[86:87], s[16:17], v[156:157]
	v_add_f64 v[130:131], v[142:143], v[130:131]
	v_fma_f64 v[142:143], v[60:61], s[16:17], -v[152:153]
	v_fma_f64 v[144:145], v[58:59], s[14:15], -v[144:145]
	v_add_f64 v[162:163], v[4:5], v[126:127]
	v_fma_f64 v[156:157], v[56:57], s[16:17], v[140:141]
	v_add_f64 v[132:133], v[132:133], v[124:125]
	v_add_f64 v[126:127], v[138:139], v[128:129]
	;; [unrolled: 1-line block ×3, first 2 shown]
	v_fma_f64 v[134:135], v[104:105], s[20:21], v[146:147]
	v_add_f64 v[138:139], v[142:143], v[130:131]
	v_mul_f64 v[146:147], v[118:119], s[24:25]
	v_add_f64 v[130:131], v[148:149], v[162:163]
	v_mul_f64 v[142:143], v[122:123], s[24:25]
	v_fma_f64 v[136:137], v[82:83], s[6:7], v[136:137]
	v_mul_f64 v[164:165], v[84:85], s[18:19]
	v_add_f64 v[132:133], v[156:157], v[132:133]
	v_add_f64 v[134:135], v[0:1], v[134:135]
	v_mul_f64 v[162:163], v[112:113], s[18:19]
	v_fma_f64 v[150:151], v[52:53], s[8:9], -v[150:151]
	v_add_f64 v[130:131], v[144:145], v[130:131]
	v_fma_f64 v[144:145], v[104:105], s[16:17], -v[146:147]
	v_fma_f64 v[156:157], v[120:121], s[16:17], v[142:143]
	v_fma_f64 v[168:169], v[82:83], s[14:15], -v[164:165]
	v_mul_f64 v[170:171], v[68:69], s[10:11]
	v_add_f64 v[134:135], v[136:137], v[134:135]
	v_fma_f64 v[136:137], v[62:63], s[14:15], v[158:159]
	v_fma_f64 v[158:159], v[74:75], s[14:15], v[162:163]
	v_mul_f64 v[166:167], v[108:109], s[10:11]
	v_add_f64 v[144:145], v[0:1], v[144:145]
	v_add_f64 v[156:157], v[4:5], v[156:157]
	;; [unrolled: 1-line block ×3, first 2 shown]
	v_fma_f64 v[140:141], v[56:57], s[16:17], -v[140:141]
	v_fma_f64 v[152:153], v[60:61], s[16:17], v[152:153]
	v_add_f64 v[130:131], v[136:137], v[134:135]
	v_fma_f64 v[134:135], v[54:55], s[8:9], v[160:161]
	v_fma_f64 v[160:161], v[62:63], s[6:7], -v[170:171]
	v_add_f64 v[144:145], v[168:169], v[144:145]
	v_mul_f64 v[168:169], v[66:67], s[30:31]
	v_add_f64 v[136:137], v[158:159], v[156:157]
	v_fma_f64 v[156:157], v[58:59], s[6:7], v[166:167]
	v_mul_f64 v[158:159], v[98:99], s[30:31]
	v_mul_f64 v[128:129], v[92:93], s[4:5]
	v_add_f64 v[134:135], v[134:135], v[130:131]
	v_mul_f64 v[172:173], v[102:103], s[26:27]
	v_add_f64 v[144:145], v[160:161], v[144:145]
	v_fma_f64 v[160:161], v[54:55], s[0:1], -v[168:169]
	v_add_f64 v[116:117], v[4:5], v[116:117]
	v_add_f64 v[136:137], v[156:157], v[136:137]
	v_fma_f64 v[156:157], v[52:53], s[0:1], v[158:159]
	v_add_f64 v[114:115], v[0:1], v[114:115]
	v_add_f64 v[140:141], v[140:141], v[150:151]
	;; [unrolled: 1-line block ×3, first 2 shown]
	v_mul_f64 v[152:153], v[92:93], s[12:13]
	v_add_f64 v[144:145], v[160:161], v[144:145]
	v_mul_f64 v[160:161], v[94:95], s[12:13]
	s_mov_b32 s13, 0xbfddbe06
	v_fma_f64 v[148:149], v[64:65], s[0:1], v[128:129]
	v_add_f64 v[134:135], v[156:157], v[136:137]
	v_fma_f64 v[136:137], v[56:57], s[20:21], v[172:173]
	v_fma_f64 v[174:175], v[64:65], s[0:1], -v[128:129]
	v_mul_f64 v[122:123], v[122:123], s[12:13]
	v_add_f64 v[110:111], v[110:111], v[116:117]
	v_add_f64 v[106:107], v[106:107], v[114:115]
	v_mul_f64 v[112:113], v[112:113], s[24:25]
	v_add_f64 v[130:131], v[148:149], v[132:133]
	v_mul_f64 v[148:149], v[80:81], s[26:27]
	v_add_f64 v[136:137], v[136:137], v[134:135]
	v_add_f64 v[134:135], v[174:175], v[140:141]
	v_fma_f64 v[140:141], v[120:121], s[8:9], v[122:123]
	v_add_f64 v[100:101], v[100:101], v[110:111]
	v_add_f64 v[96:97], v[96:97], v[106:107]
	v_mul_f64 v[154:155], v[94:95], s[4:5]
	v_fma_f64 v[142:143], v[120:121], s[16:17], -v[142:143]
	v_fma_f64 v[156:157], v[60:61], s[20:21], -v[148:149]
	;; [unrolled: 1-line block ×3, first 2 shown]
	v_fma_f64 v[114:115], v[74:75], s[16:17], v[112:113]
	v_add_f64 v[122:123], v[4:5], v[140:141]
	v_mul_f64 v[108:109], v[108:109], s[28:29]
	v_add_f64 v[90:91], v[90:91], v[100:101]
	v_add_f64 v[88:89], v[88:89], v[96:97]
	v_fma_f64 v[132:133], v[86:87], s[0:1], -v[154:155]
	v_fma_f64 v[176:177], v[64:65], s[8:9], v[152:153]
	v_add_f64 v[144:145], v[156:157], v[144:145]
	v_fma_f64 v[156:157], v[86:87], s[8:9], -v[160:161]
	v_mul_f64 v[118:119], v[118:119], s[12:13]
	v_add_f64 v[106:107], v[114:115], v[122:123]
	v_fma_f64 v[110:111], v[58:59], s[20:21], v[108:109]
	v_mul_f64 v[98:99], v[98:99], s[18:19]
	v_add_f64 v[72:73], v[72:73], v[90:91]
	v_add_f64 v[70:71], v[70:71], v[88:89]
	;; [unrolled: 1-line block ×4, first 2 shown]
	v_fma_f64 v[146:147], v[104:105], s[16:17], v[146:147]
	v_add_f64 v[136:137], v[156:157], v[144:145]
	v_add_f64 v[142:143], v[4:5], v[142:143]
	v_fma_f64 v[144:145], v[74:75], s[14:15], -v[162:163]
	v_add_f64 v[4:5], v[4:5], v[120:121]
	v_fma_f64 v[120:121], v[104:105], s[8:9], -v[118:119]
	v_fma_f64 v[104:105], v[104:105], s[8:9], v[118:119]
	v_add_f64 v[100:101], v[110:111], v[106:107]
	v_fma_f64 v[106:107], v[52:53], s[14:15], v[98:99]
	v_mul_f64 v[84:85], v[84:85], s[24:25]
	v_add_f64 v[50:51], v[50:51], v[72:73]
	v_add_f64 v[48:49], v[48:49], v[70:71]
	;; [unrolled: 1-line block ×4, first 2 shown]
	v_fma_f64 v[144:145], v[58:59], s[6:7], -v[166:167]
	v_fma_f64 v[146:147], v[82:83], s[14:15], v[164:165]
	v_add_f64 v[90:91], v[106:107], v[100:101]
	v_add_f64 v[106:107], v[0:1], v[120:121]
	;; [unrolled: 1-line block ×3, first 2 shown]
	v_fma_f64 v[72:73], v[82:83], s[16:17], -v[84:85]
	v_fma_f64 v[74:75], v[74:75], s[16:17], -v[112:113]
	v_fma_f64 v[82:83], v[82:83], s[16:17], v[84:85]
	v_add_f64 v[46:47], v[46:47], v[50:51]
	v_add_f64 v[44:45], v[44:45], v[48:49]
	v_mul_f64 v[68:69], v[68:69], s[28:29]
	v_add_f64 v[116:117], v[144:145], v[142:143]
	v_fma_f64 v[142:143], v[62:63], s[6:7], v[170:171]
	v_add_f64 v[50:51], v[72:73], v[106:107]
	v_fma_f64 v[58:59], v[58:59], s[20:21], -v[108:109]
	v_mul_f64 v[66:67], v[66:67], s[18:19]
	v_add_f64 v[4:5], v[74:75], v[4:5]
	v_add_f64 v[0:1], v[82:83], v[0:1]
	v_fma_f64 v[74:75], v[62:63], s[20:21], -v[68:69]
	v_fma_f64 v[62:63], v[62:63], s[20:21], v[68:69]
	v_add_f64 v[40:41], v[40:41], v[46:47]
	v_add_f64 v[38:39], v[38:39], v[44:45]
	;; [unrolled: 1-line block ×3, first 2 shown]
	v_fma_f64 v[144:145], v[52:53], s[0:1], -v[158:159]
	v_mul_f64 v[102:103], v[102:103], s[4:5]
	v_mul_f64 v[80:81], v[80:81], s[4:5]
	v_fma_f64 v[44:45], v[54:55], s[14:15], -v[66:67]
	v_add_f64 v[46:47], v[74:75], v[50:51]
	v_fma_f64 v[50:51], v[52:53], s[14:15], -v[98:99]
	v_add_f64 v[4:5], v[58:59], v[4:5]
	v_fma_f64 v[52:53], v[54:55], s[14:15], v[66:67]
	v_add_f64 v[0:1], v[62:63], v[0:1]
	v_add_f64 v[36:37], v[36:37], v[40:41]
	;; [unrolled: 1-line block ×4, first 2 shown]
	v_fma_f64 v[118:119], v[54:55], s[0:1], v[168:169]
	v_mul_f64 v[48:49], v[92:93], s[10:11]
	v_mul_f64 v[94:95], v[94:95], s[10:11]
	v_fma_f64 v[38:39], v[60:61], s[0:1], -v[80:81]
	v_add_f64 v[40:41], v[44:45], v[46:47]
	v_fma_f64 v[44:45], v[56:57], s[0:1], -v[102:103]
	v_add_f64 v[4:5], v[50:51], v[4:5]
	v_fma_f64 v[46:47], v[60:61], s[0:1], v[80:81]
	v_add_f64 v[0:1], v[52:53], v[0:1]
	v_add_f64 v[36:37], v[42:43], v[36:37]
	;; [unrolled: 1-line block ×4, first 2 shown]
	v_fma_f64 v[110:111], v[56:57], s[20:21], -v[172:173]
	v_add_f64 v[114:115], v[118:119], v[114:115]
	v_fma_f64 v[88:89], v[60:61], s[20:21], v[148:149]
	v_fma_f64 v[92:93], v[64:65], s[6:7], v[48:49]
	v_fma_f64 v[42:43], v[86:87], s[6:7], -v[94:95]
	v_add_f64 v[38:39], v[38:39], v[40:41]
	v_fma_f64 v[40:41], v[64:65], s[6:7], -v[48:49]
	v_add_f64 v[4:5], v[44:45], v[4:5]
	v_add_f64 v[0:1], v[46:47], v[0:1]
	;; [unrolled: 1-line block ×4, first 2 shown]
	v_fma_f64 v[44:45], v[86:87], s[6:7], v[94:95]
	v_fma_f64 v[154:155], v[86:87], s[0:1], v[154:155]
	v_add_f64 v[70:71], v[110:111], v[96:97]
	v_add_f64 v[88:89], v[88:89], v[114:115]
	v_fma_f64 v[72:73], v[64:65], s[8:9], -v[152:153]
	v_fma_f64 v[84:85], v[86:87], s[8:9], v[160:161]
	v_fma_f64 v[100:101], v[56:57], s[0:1], v[102:103]
	v_add_f64 v[32:33], v[42:43], v[38:39]
	v_add_f64 v[38:39], v[40:41], v[4:5]
	;; [unrolled: 1-line block ×9, first 2 shown]
	v_mov_b32_e32 v0, s3
	v_add_co_u32_e32 v26, vcc, s2, v76
	v_addc_co_u32_e32 v27, vcc, v0, v77, vcc
	v_lshlrev_b64 v[0:1], 4, v[78:79]
	s_movk_i32 s12, 0x1000
	v_add_co_u32_e32 v0, vcc, v26, v0
	v_addc_co_u32_e32 v1, vcc, v27, v1, vcc
	global_store_dwordx4 v[0:1], v[2:5], off
	global_store_dwordx4 v[0:1], v[36:39], off offset:1872
	global_store_dwordx4 v[0:1], v[28:31], off offset:3744
	v_add_co_u32_e32 v2, vcc, s12, v0
	s_movk_i32 s13, 0x2000
	v_addc_co_u32_e32 v3, vcc, 0, v1, vcc
	global_store_dwordx4 v[2:3], v[132:135], off offset:1520
	global_store_dwordx4 v[2:3], v[124:127], off offset:3392
	v_add_co_u32_e32 v2, vcc, s13, v0
	v_add_f64 v[34:35], v[92:93], v[90:91]
	v_addc_co_u32_e32 v3, vcc, 0, v1, vcc
	s_movk_i32 s0, 0x3000
	global_store_dwordx4 v[2:3], v[18:21], off offset:1168
	global_store_dwordx4 v[2:3], v[14:17], off offset:3040
	v_add_co_u32_e32 v2, vcc, s0, v0
	v_addc_co_u32_e32 v3, vcc, 0, v1, vcc
	s_movk_i32 s0, 0x4000
	global_store_dwordx4 v[2:3], v[6:9], off offset:816
	global_store_dwordx4 v[2:3], v[10:13], off offset:2688
	v_add_co_u32_e32 v2, vcc, s0, v0
	v_addc_co_u32_e32 v3, vcc, 0, v1, vcc
	v_add_co_u32_e32 v0, vcc, 0x5000, v0
	v_addc_co_u32_e32 v1, vcc, 0, v1, vcc
	global_store_dwordx4 v[2:3], v[22:25], off offset:464
	global_store_dwordx4 v[2:3], v[128:131], off offset:2336
	;; [unrolled: 1-line block ×4, first 2 shown]
.LBB0_29:
	s_endpgm
	.section	.rodata,"a",@progbits
	.p2align	6, 0x0
	.amdhsa_kernel fft_rtc_back_len1521_factors_13_3_3_13_wgs_117_tpt_117_halfLds_dp_ip_CI_unitstride_sbrr_dirReg
		.amdhsa_group_segment_fixed_size 0
		.amdhsa_private_segment_fixed_size 0
		.amdhsa_kernarg_size 88
		.amdhsa_user_sgpr_count 6
		.amdhsa_user_sgpr_private_segment_buffer 1
		.amdhsa_user_sgpr_dispatch_ptr 0
		.amdhsa_user_sgpr_queue_ptr 0
		.amdhsa_user_sgpr_kernarg_segment_ptr 1
		.amdhsa_user_sgpr_dispatch_id 0
		.amdhsa_user_sgpr_flat_scratch_init 0
		.amdhsa_user_sgpr_private_segment_size 0
		.amdhsa_uses_dynamic_stack 0
		.amdhsa_system_sgpr_private_segment_wavefront_offset 0
		.amdhsa_system_sgpr_workgroup_id_x 1
		.amdhsa_system_sgpr_workgroup_id_y 0
		.amdhsa_system_sgpr_workgroup_id_z 0
		.amdhsa_system_sgpr_workgroup_info 0
		.amdhsa_system_vgpr_workitem_id 0
		.amdhsa_next_free_vgpr 178
		.amdhsa_next_free_sgpr 46
		.amdhsa_reserve_vcc 1
		.amdhsa_reserve_flat_scratch 0
		.amdhsa_float_round_mode_32 0
		.amdhsa_float_round_mode_16_64 0
		.amdhsa_float_denorm_mode_32 3
		.amdhsa_float_denorm_mode_16_64 3
		.amdhsa_dx10_clamp 1
		.amdhsa_ieee_mode 1
		.amdhsa_fp16_overflow 0
		.amdhsa_exception_fp_ieee_invalid_op 0
		.amdhsa_exception_fp_denorm_src 0
		.amdhsa_exception_fp_ieee_div_zero 0
		.amdhsa_exception_fp_ieee_overflow 0
		.amdhsa_exception_fp_ieee_underflow 0
		.amdhsa_exception_fp_ieee_inexact 0
		.amdhsa_exception_int_div_zero 0
	.end_amdhsa_kernel
	.text
.Lfunc_end0:
	.size	fft_rtc_back_len1521_factors_13_3_3_13_wgs_117_tpt_117_halfLds_dp_ip_CI_unitstride_sbrr_dirReg, .Lfunc_end0-fft_rtc_back_len1521_factors_13_3_3_13_wgs_117_tpt_117_halfLds_dp_ip_CI_unitstride_sbrr_dirReg
                                        ; -- End function
	.section	.AMDGPU.csdata,"",@progbits
; Kernel info:
; codeLenInByte = 13152
; NumSgprs: 50
; NumVgprs: 178
; ScratchSize: 0
; MemoryBound: 1
; FloatMode: 240
; IeeeMode: 1
; LDSByteSize: 0 bytes/workgroup (compile time only)
; SGPRBlocks: 6
; VGPRBlocks: 44
; NumSGPRsForWavesPerEU: 50
; NumVGPRsForWavesPerEU: 178
; Occupancy: 1
; WaveLimiterHint : 1
; COMPUTE_PGM_RSRC2:SCRATCH_EN: 0
; COMPUTE_PGM_RSRC2:USER_SGPR: 6
; COMPUTE_PGM_RSRC2:TRAP_HANDLER: 0
; COMPUTE_PGM_RSRC2:TGID_X_EN: 1
; COMPUTE_PGM_RSRC2:TGID_Y_EN: 0
; COMPUTE_PGM_RSRC2:TGID_Z_EN: 0
; COMPUTE_PGM_RSRC2:TIDIG_COMP_CNT: 0
	.type	__hip_cuid_76700f7b977cf492,@object ; @__hip_cuid_76700f7b977cf492
	.section	.bss,"aw",@nobits
	.globl	__hip_cuid_76700f7b977cf492
__hip_cuid_76700f7b977cf492:
	.byte	0                               ; 0x0
	.size	__hip_cuid_76700f7b977cf492, 1

	.ident	"AMD clang version 19.0.0git (https://github.com/RadeonOpenCompute/llvm-project roc-6.4.0 25133 c7fe45cf4b819c5991fe208aaa96edf142730f1d)"
	.section	".note.GNU-stack","",@progbits
	.addrsig
	.addrsig_sym __hip_cuid_76700f7b977cf492
	.amdgpu_metadata
---
amdhsa.kernels:
  - .args:
      - .actual_access:  read_only
        .address_space:  global
        .offset:         0
        .size:           8
        .value_kind:     global_buffer
      - .offset:         8
        .size:           8
        .value_kind:     by_value
      - .actual_access:  read_only
        .address_space:  global
        .offset:         16
        .size:           8
        .value_kind:     global_buffer
      - .actual_access:  read_only
        .address_space:  global
        .offset:         24
        .size:           8
        .value_kind:     global_buffer
      - .offset:         32
        .size:           8
        .value_kind:     by_value
      - .actual_access:  read_only
        .address_space:  global
        .offset:         40
        .size:           8
        .value_kind:     global_buffer
      - .actual_access:  read_only
        .address_space:  global
        .offset:         48
        .size:           8
        .value_kind:     global_buffer
      - .offset:         56
        .size:           4
        .value_kind:     by_value
      - .actual_access:  read_only
        .address_space:  global
        .offset:         64
        .size:           8
        .value_kind:     global_buffer
      - .actual_access:  read_only
        .address_space:  global
        .offset:         72
        .size:           8
        .value_kind:     global_buffer
      - .address_space:  global
        .offset:         80
        .size:           8
        .value_kind:     global_buffer
    .group_segment_fixed_size: 0
    .kernarg_segment_align: 8
    .kernarg_segment_size: 88
    .language:       OpenCL C
    .language_version:
      - 2
      - 0
    .max_flat_workgroup_size: 117
    .name:           fft_rtc_back_len1521_factors_13_3_3_13_wgs_117_tpt_117_halfLds_dp_ip_CI_unitstride_sbrr_dirReg
    .private_segment_fixed_size: 0
    .sgpr_count:     50
    .sgpr_spill_count: 0
    .symbol:         fft_rtc_back_len1521_factors_13_3_3_13_wgs_117_tpt_117_halfLds_dp_ip_CI_unitstride_sbrr_dirReg.kd
    .uniform_work_group_size: 1
    .uses_dynamic_stack: false
    .vgpr_count:     178
    .vgpr_spill_count: 0
    .wavefront_size: 64
amdhsa.target:   amdgcn-amd-amdhsa--gfx906
amdhsa.version:
  - 1
  - 2
...

	.end_amdgpu_metadata
